;; amdgpu-corpus repo=ROCm/rocFFT kind=compiled arch=gfx1201 opt=O3
	.text
	.amdgcn_target "amdgcn-amd-amdhsa--gfx1201"
	.amdhsa_code_object_version 6
	.protected	fft_rtc_back_len756_factors_2_2_3_3_3_7_wgs_63_tpt_63_dp_op_CI_CI_unitstride_sbrr_R2C_dirReg ; -- Begin function fft_rtc_back_len756_factors_2_2_3_3_3_7_wgs_63_tpt_63_dp_op_CI_CI_unitstride_sbrr_R2C_dirReg
	.globl	fft_rtc_back_len756_factors_2_2_3_3_3_7_wgs_63_tpt_63_dp_op_CI_CI_unitstride_sbrr_R2C_dirReg
	.p2align	8
	.type	fft_rtc_back_len756_factors_2_2_3_3_3_7_wgs_63_tpt_63_dp_op_CI_CI_unitstride_sbrr_R2C_dirReg,@function
fft_rtc_back_len756_factors_2_2_3_3_3_7_wgs_63_tpt_63_dp_op_CI_CI_unitstride_sbrr_R2C_dirReg: ; @fft_rtc_back_len756_factors_2_2_3_3_3_7_wgs_63_tpt_63_dp_op_CI_CI_unitstride_sbrr_R2C_dirReg
; %bb.0:
	s_clause 0x2
	s_load_b128 s[8:11], s[0:1], 0x0
	s_load_b128 s[4:7], s[0:1], 0x58
	;; [unrolled: 1-line block ×3, first 2 shown]
	v_mul_u32_u24_e32 v1, 0x411, v0
	v_mov_b32_e32 v3, 0
	s_delay_alu instid0(VALU_DEP_2) | instskip(NEXT) | instid1(VALU_DEP_1)
	v_lshrrev_b32_e32 v1, 16, v1
	v_add_nc_u32_e32 v5, ttmp9, v1
	v_mov_b32_e32 v1, 0
	v_mov_b32_e32 v2, 0
	;; [unrolled: 1-line block ×3, first 2 shown]
	s_wait_kmcnt 0x0
	v_cmp_lt_u64_e64 s2, s[10:11], 2
	s_delay_alu instid0(VALU_DEP_1)
	s_and_b32 vcc_lo, exec_lo, s2
	s_cbranch_vccnz .LBB0_8
; %bb.1:
	s_load_b64 s[2:3], s[0:1], 0x10
	v_mov_b32_e32 v1, 0
	v_mov_b32_e32 v2, 0
	s_add_nc_u64 s[16:17], s[14:15], 8
	s_add_nc_u64 s[18:19], s[12:13], 8
	s_mov_b64 s[20:21], 1
	s_delay_alu instid0(VALU_DEP_1)
	v_dual_mov_b32 v57, v2 :: v_dual_mov_b32 v56, v1
	s_wait_kmcnt 0x0
	s_add_nc_u64 s[22:23], s[2:3], 8
	s_mov_b32 s3, 0
.LBB0_2:                                ; =>This Inner Loop Header: Depth=1
	s_load_b64 s[24:25], s[22:23], 0x0
                                        ; implicit-def: $vgpr62_vgpr63
	s_mov_b32 s2, exec_lo
	s_wait_kmcnt 0x0
	v_or_b32_e32 v4, s25, v6
	s_delay_alu instid0(VALU_DEP_1)
	v_cmpx_ne_u64_e32 0, v[3:4]
	s_wait_alu 0xfffe
	s_xor_b32 s26, exec_lo, s2
	s_cbranch_execz .LBB0_4
; %bb.3:                                ;   in Loop: Header=BB0_2 Depth=1
	s_cvt_f32_u32 s2, s24
	s_cvt_f32_u32 s27, s25
	s_sub_nc_u64 s[30:31], 0, s[24:25]
	s_wait_alu 0xfffe
	s_delay_alu instid0(SALU_CYCLE_1) | instskip(SKIP_1) | instid1(SALU_CYCLE_2)
	s_fmamk_f32 s2, s27, 0x4f800000, s2
	s_wait_alu 0xfffe
	v_s_rcp_f32 s2, s2
	s_delay_alu instid0(TRANS32_DEP_1) | instskip(SKIP_1) | instid1(SALU_CYCLE_2)
	s_mul_f32 s2, s2, 0x5f7ffffc
	s_wait_alu 0xfffe
	s_mul_f32 s27, s2, 0x2f800000
	s_wait_alu 0xfffe
	s_delay_alu instid0(SALU_CYCLE_2) | instskip(SKIP_1) | instid1(SALU_CYCLE_2)
	s_trunc_f32 s27, s27
	s_wait_alu 0xfffe
	s_fmamk_f32 s2, s27, 0xcf800000, s2
	s_cvt_u32_f32 s29, s27
	s_wait_alu 0xfffe
	s_delay_alu instid0(SALU_CYCLE_1) | instskip(SKIP_1) | instid1(SALU_CYCLE_2)
	s_cvt_u32_f32 s28, s2
	s_wait_alu 0xfffe
	s_mul_u64 s[34:35], s[30:31], s[28:29]
	s_wait_alu 0xfffe
	s_mul_hi_u32 s37, s28, s35
	s_mul_i32 s36, s28, s35
	s_mul_hi_u32 s2, s28, s34
	s_mul_i32 s33, s29, s34
	s_wait_alu 0xfffe
	s_add_nc_u64 s[36:37], s[2:3], s[36:37]
	s_mul_hi_u32 s27, s29, s34
	s_mul_hi_u32 s38, s29, s35
	s_add_co_u32 s2, s36, s33
	s_wait_alu 0xfffe
	s_add_co_ci_u32 s2, s37, s27
	s_mul_i32 s34, s29, s35
	s_add_co_ci_u32 s35, s38, 0
	s_wait_alu 0xfffe
	s_add_nc_u64 s[34:35], s[2:3], s[34:35]
	s_wait_alu 0xfffe
	v_add_co_u32 v4, s2, s28, s34
	s_delay_alu instid0(VALU_DEP_1) | instskip(SKIP_1) | instid1(VALU_DEP_1)
	s_cmp_lg_u32 s2, 0
	s_add_co_ci_u32 s29, s29, s35
	v_readfirstlane_b32 s28, v4
	s_wait_alu 0xfffe
	s_delay_alu instid0(VALU_DEP_1)
	s_mul_u64 s[30:31], s[30:31], s[28:29]
	s_wait_alu 0xfffe
	s_mul_hi_u32 s35, s28, s31
	s_mul_i32 s34, s28, s31
	s_mul_hi_u32 s2, s28, s30
	s_mul_i32 s33, s29, s30
	s_wait_alu 0xfffe
	s_add_nc_u64 s[34:35], s[2:3], s[34:35]
	s_mul_hi_u32 s27, s29, s30
	s_mul_hi_u32 s28, s29, s31
	s_wait_alu 0xfffe
	s_add_co_u32 s2, s34, s33
	s_add_co_ci_u32 s2, s35, s27
	s_mul_i32 s30, s29, s31
	s_add_co_ci_u32 s31, s28, 0
	s_wait_alu 0xfffe
	s_add_nc_u64 s[30:31], s[2:3], s[30:31]
	s_wait_alu 0xfffe
	v_add_co_u32 v4, s2, v4, s30
	s_delay_alu instid0(VALU_DEP_1) | instskip(SKIP_1) | instid1(VALU_DEP_1)
	s_cmp_lg_u32 s2, 0
	s_add_co_ci_u32 s2, s29, s31
	v_mul_hi_u32 v13, v5, v4
	s_wait_alu 0xfffe
	v_mad_co_u64_u32 v[7:8], null, v5, s2, 0
	v_mad_co_u64_u32 v[9:10], null, v6, v4, 0
	;; [unrolled: 1-line block ×3, first 2 shown]
	s_delay_alu instid0(VALU_DEP_3) | instskip(SKIP_1) | instid1(VALU_DEP_4)
	v_add_co_u32 v4, vcc_lo, v13, v7
	s_wait_alu 0xfffd
	v_add_co_ci_u32_e32 v7, vcc_lo, 0, v8, vcc_lo
	s_delay_alu instid0(VALU_DEP_2) | instskip(SKIP_1) | instid1(VALU_DEP_2)
	v_add_co_u32 v4, vcc_lo, v4, v9
	s_wait_alu 0xfffd
	v_add_co_ci_u32_e32 v4, vcc_lo, v7, v10, vcc_lo
	s_wait_alu 0xfffd
	v_add_co_ci_u32_e32 v7, vcc_lo, 0, v12, vcc_lo
	s_delay_alu instid0(VALU_DEP_2) | instskip(SKIP_1) | instid1(VALU_DEP_2)
	v_add_co_u32 v4, vcc_lo, v4, v11
	s_wait_alu 0xfffd
	v_add_co_ci_u32_e32 v9, vcc_lo, 0, v7, vcc_lo
	s_delay_alu instid0(VALU_DEP_2) | instskip(SKIP_1) | instid1(VALU_DEP_3)
	v_mul_lo_u32 v10, s25, v4
	v_mad_co_u64_u32 v[7:8], null, s24, v4, 0
	v_mul_lo_u32 v11, s24, v9
	s_delay_alu instid0(VALU_DEP_2) | instskip(NEXT) | instid1(VALU_DEP_2)
	v_sub_co_u32 v7, vcc_lo, v5, v7
	v_add3_u32 v8, v8, v11, v10
	s_delay_alu instid0(VALU_DEP_1) | instskip(SKIP_1) | instid1(VALU_DEP_1)
	v_sub_nc_u32_e32 v10, v6, v8
	s_wait_alu 0xfffd
	v_subrev_co_ci_u32_e64 v10, s2, s25, v10, vcc_lo
	v_add_co_u32 v11, s2, v4, 2
	s_wait_alu 0xf1ff
	v_add_co_ci_u32_e64 v12, s2, 0, v9, s2
	v_sub_co_u32 v13, s2, v7, s24
	v_sub_co_ci_u32_e32 v8, vcc_lo, v6, v8, vcc_lo
	s_wait_alu 0xf1ff
	v_subrev_co_ci_u32_e64 v10, s2, 0, v10, s2
	s_delay_alu instid0(VALU_DEP_3) | instskip(NEXT) | instid1(VALU_DEP_3)
	v_cmp_le_u32_e32 vcc_lo, s24, v13
	v_cmp_eq_u32_e64 s2, s25, v8
	s_wait_alu 0xfffd
	v_cndmask_b32_e64 v13, 0, -1, vcc_lo
	v_cmp_le_u32_e32 vcc_lo, s25, v10
	s_wait_alu 0xfffd
	v_cndmask_b32_e64 v14, 0, -1, vcc_lo
	v_cmp_le_u32_e32 vcc_lo, s24, v7
	;; [unrolled: 3-line block ×3, first 2 shown]
	s_wait_alu 0xfffd
	v_cndmask_b32_e64 v15, 0, -1, vcc_lo
	v_cmp_eq_u32_e32 vcc_lo, s25, v10
	s_wait_alu 0xf1ff
	s_delay_alu instid0(VALU_DEP_2)
	v_cndmask_b32_e64 v7, v15, v7, s2
	s_wait_alu 0xfffd
	v_cndmask_b32_e32 v10, v14, v13, vcc_lo
	v_add_co_u32 v13, vcc_lo, v4, 1
	s_wait_alu 0xfffd
	v_add_co_ci_u32_e32 v14, vcc_lo, 0, v9, vcc_lo
	s_delay_alu instid0(VALU_DEP_3) | instskip(SKIP_1) | instid1(VALU_DEP_2)
	v_cmp_ne_u32_e32 vcc_lo, 0, v10
	s_wait_alu 0xfffd
	v_cndmask_b32_e32 v8, v14, v12, vcc_lo
	v_cndmask_b32_e32 v10, v13, v11, vcc_lo
	v_cmp_ne_u32_e32 vcc_lo, 0, v7
	s_wait_alu 0xfffd
	s_delay_alu instid0(VALU_DEP_2)
	v_dual_cndmask_b32 v63, v9, v8 :: v_dual_cndmask_b32 v62, v4, v10
.LBB0_4:                                ;   in Loop: Header=BB0_2 Depth=1
	s_wait_alu 0xfffe
	s_and_not1_saveexec_b32 s2, s26
	s_cbranch_execz .LBB0_6
; %bb.5:                                ;   in Loop: Header=BB0_2 Depth=1
	v_cvt_f32_u32_e32 v4, s24
	s_sub_co_i32 s26, 0, s24
	v_mov_b32_e32 v63, v3
	s_delay_alu instid0(VALU_DEP_2) | instskip(NEXT) | instid1(TRANS32_DEP_1)
	v_rcp_iflag_f32_e32 v4, v4
	v_mul_f32_e32 v4, 0x4f7ffffe, v4
	s_delay_alu instid0(VALU_DEP_1) | instskip(SKIP_1) | instid1(VALU_DEP_1)
	v_cvt_u32_f32_e32 v4, v4
	s_wait_alu 0xfffe
	v_mul_lo_u32 v7, s26, v4
	s_delay_alu instid0(VALU_DEP_1) | instskip(NEXT) | instid1(VALU_DEP_1)
	v_mul_hi_u32 v7, v4, v7
	v_add_nc_u32_e32 v4, v4, v7
	s_delay_alu instid0(VALU_DEP_1) | instskip(NEXT) | instid1(VALU_DEP_1)
	v_mul_hi_u32 v4, v5, v4
	v_mul_lo_u32 v7, v4, s24
	v_add_nc_u32_e32 v8, 1, v4
	s_delay_alu instid0(VALU_DEP_2) | instskip(NEXT) | instid1(VALU_DEP_1)
	v_sub_nc_u32_e32 v7, v5, v7
	v_subrev_nc_u32_e32 v9, s24, v7
	v_cmp_le_u32_e32 vcc_lo, s24, v7
	s_wait_alu 0xfffd
	s_delay_alu instid0(VALU_DEP_2) | instskip(NEXT) | instid1(VALU_DEP_1)
	v_dual_cndmask_b32 v7, v7, v9 :: v_dual_cndmask_b32 v4, v4, v8
	v_cmp_le_u32_e32 vcc_lo, s24, v7
	s_delay_alu instid0(VALU_DEP_2) | instskip(SKIP_1) | instid1(VALU_DEP_1)
	v_add_nc_u32_e32 v8, 1, v4
	s_wait_alu 0xfffd
	v_cndmask_b32_e32 v62, v4, v8, vcc_lo
.LBB0_6:                                ;   in Loop: Header=BB0_2 Depth=1
	s_wait_alu 0xfffe
	s_or_b32 exec_lo, exec_lo, s2
	v_mul_lo_u32 v4, v63, s24
	s_delay_alu instid0(VALU_DEP_2)
	v_mul_lo_u32 v9, v62, s25
	s_load_b64 s[26:27], s[18:19], 0x0
	v_mad_co_u64_u32 v[7:8], null, v62, s24, 0
	s_load_b64 s[24:25], s[16:17], 0x0
	s_add_nc_u64 s[20:21], s[20:21], 1
	s_add_nc_u64 s[16:17], s[16:17], 8
	s_wait_alu 0xfffe
	v_cmp_ge_u64_e64 s2, s[20:21], s[10:11]
	s_add_nc_u64 s[18:19], s[18:19], 8
	s_add_nc_u64 s[22:23], s[22:23], 8
	v_add3_u32 v4, v8, v9, v4
	v_sub_co_u32 v5, vcc_lo, v5, v7
	s_wait_alu 0xfffd
	s_delay_alu instid0(VALU_DEP_2) | instskip(SKIP_2) | instid1(VALU_DEP_1)
	v_sub_co_ci_u32_e32 v4, vcc_lo, v6, v4, vcc_lo
	s_and_b32 vcc_lo, exec_lo, s2
	s_wait_kmcnt 0x0
	v_mul_lo_u32 v6, s26, v4
	v_mul_lo_u32 v7, s27, v5
	v_mad_co_u64_u32 v[1:2], null, s26, v5, v[1:2]
	v_mul_lo_u32 v4, s24, v4
	v_mul_lo_u32 v8, s25, v5
	v_mad_co_u64_u32 v[56:57], null, s24, v5, v[56:57]
	s_delay_alu instid0(VALU_DEP_4) | instskip(NEXT) | instid1(VALU_DEP_2)
	v_add3_u32 v2, v7, v2, v6
	v_add3_u32 v57, v8, v57, v4
	s_wait_alu 0xfffe
	s_cbranch_vccnz .LBB0_9
; %bb.7:                                ;   in Loop: Header=BB0_2 Depth=1
	v_dual_mov_b32 v5, v62 :: v_dual_mov_b32 v6, v63
	s_branch .LBB0_2
.LBB0_8:
	v_dual_mov_b32 v57, v2 :: v_dual_mov_b32 v56, v1
	v_dual_mov_b32 v63, v6 :: v_dual_mov_b32 v62, v5
.LBB0_9:
	s_load_b64 s[0:1], s[0:1], 0x28
	v_mul_hi_u32 v3, 0x4104105, v0
	s_lshl_b64 s[10:11], s[10:11], 3
                                        ; implicit-def: $vgpr58
                                        ; implicit-def: $vgpr60
                                        ; implicit-def: $vgpr67
                                        ; implicit-def: $vgpr66
                                        ; implicit-def: $vgpr65
                                        ; implicit-def: $vgpr64
	s_wait_kmcnt 0x0
	v_cmp_gt_u64_e32 vcc_lo, s[0:1], v[62:63]
	v_cmp_le_u64_e64 s0, s[0:1], v[62:63]
	s_delay_alu instid0(VALU_DEP_1)
	s_and_saveexec_b32 s1, s0
	s_wait_alu 0xfffe
	s_xor_b32 s0, exec_lo, s1
; %bb.10:
	v_mul_u32_u24_e32 v1, 63, v3
                                        ; implicit-def: $vgpr3
	s_delay_alu instid0(VALU_DEP_1) | instskip(NEXT) | instid1(VALU_DEP_1)
	v_sub_nc_u32_e32 v58, v0, v1
                                        ; implicit-def: $vgpr0
                                        ; implicit-def: $vgpr1_vgpr2
	v_add_nc_u32_e32 v60, 63, v58
	v_add_nc_u32_e32 v67, 0x7e, v58
	v_add_nc_u32_e32 v66, 0xbd, v58
	v_add_nc_u32_e32 v65, 0xfc, v58
	v_add_nc_u32_e32 v64, 0x13b, v58
; %bb.11:
	s_wait_alu 0xfffe
	s_or_saveexec_b32 s1, s0
	s_add_nc_u64 s[2:3], s[14:15], s[10:11]
	s_wait_alu 0xfffe
	s_xor_b32 exec_lo, exec_lo, s1
	s_cbranch_execz .LBB0_13
; %bb.12:
	s_add_nc_u64 s[10:11], s[12:13], s[10:11]
	v_lshlrev_b64_e32 v[1:2], 4, v[1:2]
	s_load_b64 s[10:11], s[10:11], 0x0
	s_wait_kmcnt 0x0
	v_mul_lo_u32 v6, s11, v62
	v_mul_lo_u32 v7, s10, v63
	v_mad_co_u64_u32 v[4:5], null, s10, v62, 0
	s_delay_alu instid0(VALU_DEP_1) | instskip(SKIP_1) | instid1(VALU_DEP_2)
	v_add3_u32 v5, v5, v7, v6
	v_mul_u32_u24_e32 v6, 63, v3
	v_lshlrev_b64_e32 v[3:4], 4, v[4:5]
	s_delay_alu instid0(VALU_DEP_2) | instskip(NEXT) | instid1(VALU_DEP_1)
	v_sub_nc_u32_e32 v58, v0, v6
	v_lshlrev_b32_e32 v48, 4, v58
	s_delay_alu instid0(VALU_DEP_3) | instskip(SKIP_1) | instid1(VALU_DEP_4)
	v_add_co_u32 v0, s0, s4, v3
	s_wait_alu 0xf1ff
	v_add_co_ci_u32_e64 v3, s0, s5, v4, s0
	v_add_nc_u32_e32 v60, 63, v58
	s_delay_alu instid0(VALU_DEP_3) | instskip(SKIP_1) | instid1(VALU_DEP_3)
	v_add_co_u32 v0, s0, v0, v1
	s_wait_alu 0xf1ff
	v_add_co_ci_u32_e64 v1, s0, v3, v2, s0
	v_add_nc_u32_e32 v67, 0x7e, v58
	s_delay_alu instid0(VALU_DEP_3) | instskip(SKIP_1) | instid1(VALU_DEP_3)
	v_add_co_u32 v44, s0, v0, v48
	s_wait_alu 0xf1ff
	v_add_co_ci_u32_e64 v45, s0, 0, v1, s0
	s_clause 0xb
	global_load_b128 v[0:3], v[44:45], off
	global_load_b128 v[4:7], v[44:45], off offset:1008
	global_load_b128 v[8:11], v[44:45], off offset:2016
	;; [unrolled: 1-line block ×11, first 2 shown]
	v_add_nc_u32_e32 v48, 0, v48
	v_add_nc_u32_e32 v66, 0xbd, v58
	;; [unrolled: 1-line block ×4, first 2 shown]
	s_wait_loadcnt 0xb
	ds_store_b128 v48, v[0:3]
	s_wait_loadcnt 0xa
	ds_store_b128 v48, v[4:7] offset:1008
	s_wait_loadcnt 0x9
	ds_store_b128 v48, v[8:11] offset:2016
	;; [unrolled: 2-line block ×11, first 2 shown]
.LBB0_13:
	s_or_b32 exec_lo, exec_lo, s1
	v_lshlrev_b32_e32 v59, 4, v58
	s_load_b64 s[2:3], s[2:3], 0x0
	global_wb scope:SCOPE_SE
	s_wait_dscnt 0x0
	s_wait_kmcnt 0x0
	s_barrier_signal -1
	s_barrier_wait -1
	v_add_nc_u32_e32 v69, 0, v59
	global_inv scope:SCOPE_SE
	v_and_b32_e32 v86, 1, v58
	v_and_b32_e32 v87, 1, v60
	;; [unrolled: 1-line block ×3, first 2 shown]
	ds_load_b128 v[0:3], v69 offset:6048
	ds_load_b128 v[4:7], v69
	ds_load_b128 v[8:11], v69 offset:1008
	ds_load_b128 v[12:15], v69 offset:7056
	;; [unrolled: 1-line block ×10, first 2 shown]
	v_and_b32_e32 v89, 1, v64
	v_lshl_add_u32 v73, v67, 5, 0
	v_lshl_add_u32 v72, v66, 5, 0
	;; [unrolled: 1-line block ×4, first 2 shown]
	global_wb scope:SCOPE_SE
	s_wait_dscnt 0x0
	s_barrier_signal -1
	s_barrier_wait -1
	global_inv scope:SCOPE_SE
	v_add_f64_e64 v[0:1], v[4:5], -v[0:1]
	v_add_f64_e64 v[2:3], v[6:7], -v[2:3]
	;; [unrolled: 1-line block ×12, first 2 shown]
	v_lshlrev_b32_e32 v61, 4, v67
	v_lshlrev_b32_e32 v68, 4, v66
	s_mov_b32 s4, 0xe8584caa
	s_mov_b32 s5, 0xbfebb67a
	;; [unrolled: 1-line block ×3, first 2 shown]
	s_wait_alu 0xfffe
	s_mov_b32 s10, s4
	v_lshrrev_b32_e32 v112, 2, v58
	v_lshrrev_b32_e32 v114, 2, v67
	;; [unrolled: 1-line block ×4, first 2 shown]
	v_cmp_gt_u32_e64 s0, 36, v58
	v_fma_f64 v[4:5], v[4:5], 2.0, -v[0:1]
	v_fma_f64 v[6:7], v[6:7], 2.0, -v[2:3]
	;; [unrolled: 1-line block ×12, first 2 shown]
	v_lshlrev_b32_e32 v25, 4, v86
	v_add_nc_u32_e32 v27, v69, v59
	v_lshlrev_b32_e32 v26, 4, v87
	v_lshl_add_u32 v20, v60, 5, 0
	ds_store_b128 v27, v[0:3] offset:16
	ds_store_b128 v27, v[4:7]
	ds_store_b128 v20, v[12:15] offset:16
	ds_store_b128 v20, v[8:11]
	ds_store_b128 v73, v[16:19] offset:16
	ds_store_b128 v73, v[48:51]
	ds_store_b128 v72, v[28:31] offset:16
	ds_store_b128 v72, v[21:24]
	ds_store_b128 v70, v[32:35] offset:16
	ds_store_b128 v70, v[36:39]
	ds_store_b128 v71, v[44:47] offset:16
	ds_store_b128 v71, v[40:43]
	global_wb scope:SCOPE_SE
	s_wait_dscnt 0x0
	s_barrier_signal -1
	s_barrier_wait -1
	global_inv scope:SCOPE_SE
	s_clause 0x1
	global_load_b128 v[0:3], v25, s[8:9]
	global_load_b128 v[4:7], v26, s[8:9]
	v_lshlrev_b32_e32 v8, 4, v88
	v_lshlrev_b32_e32 v12, 4, v89
	s_clause 0x1
	global_load_b128 v[8:11], v8, s[8:9]
	global_load_b128 v[12:15], v12, s[8:9]
	ds_load_b128 v[22:25], v69 offset:6048
	ds_load_b128 v[26:29], v69 offset:7056
	;; [unrolled: 1-line block ×6, first 2 shown]
	v_lshlrev_b32_e32 v21, 4, v60
	s_delay_alu instid0(VALU_DEP_1)
	v_sub_nc_u32_e32 v16, v20, v21
	ds_load_b128 v[46:49], v69
	ds_load_b128 v[50:53], v16
	v_sub_nc_u32_e32 v21, 0, v21
	s_wait_loadcnt_dscnt 0x307
	v_mul_f64_e32 v[17:18], v[24:25], v[2:3]
	v_mul_f64_e32 v[54:55], v[22:23], v[2:3]
	s_wait_loadcnt_dscnt 0x206
	v_mul_f64_e32 v[74:75], v[28:29], v[6:7]
	v_mul_f64_e32 v[6:7], v[26:27], v[6:7]
	s_wait_dscnt 0x5
	v_mul_f64_e32 v[76:77], v[32:33], v[2:3]
	v_mul_f64_e32 v[78:79], v[30:31], v[2:3]
	s_wait_loadcnt_dscnt 0x104
	v_mul_f64_e32 v[80:81], v[36:37], v[10:11]
	v_mul_f64_e32 v[10:11], v[34:35], v[10:11]
	s_wait_dscnt 0x3
	v_mul_f64_e32 v[82:83], v[40:41], v[2:3]
	v_mul_f64_e32 v[2:3], v[38:39], v[2:3]
	s_wait_loadcnt_dscnt 0x2
	v_mul_f64_e32 v[84:85], v[44:45], v[14:15]
	v_mul_f64_e32 v[14:15], v[42:43], v[14:15]
	v_fma_f64 v[22:23], v[22:23], v[0:1], v[17:18]
	v_fma_f64 v[24:25], v[24:25], v[0:1], -v[54:55]
	v_fma_f64 v[26:27], v[26:27], v[4:5], v[74:75]
	v_fma_f64 v[28:29], v[28:29], v[4:5], -v[6:7]
	;; [unrolled: 2-line block ×6, first 2 shown]
	v_lshlrev_b32_e32 v74, 4, v65
	v_sub_nc_u32_e32 v17, v73, v61
	v_lshlrev_b32_e32 v75, 4, v64
	v_sub_nc_u32_e32 v18, v72, v68
	;; [unrolled: 2-line block ×3, first 2 shown]
	ds_load_b128 v[0:3], v17
	v_sub_nc_u32_e32 v12, v71, v75
	ds_load_b128 v[4:7], v18
	ds_load_b128 v[8:11], v19
	ds_load_b128 v[12:15], v12
	v_lshlrev_b32_e32 v55, 1, v65
	v_lshlrev_b32_e32 v80, 1, v64
	v_and_or_b32 v54, 0x1fc, v54, v86
	global_wb scope:SCOPE_SE
	s_wait_dscnt 0x0
	s_barrier_signal -1
	v_and_or_b32 v55, 0x3fc, v55, v86
	v_and_or_b32 v80, 0x2fc, v80, v89
	v_lshl_add_u32 v54, v54, 4, 0
	s_barrier_wait -1
	global_inv scope:SCOPE_SE
	v_lshl_add_u32 v55, v55, 4, 0
	v_lshl_add_u32 v80, v80, 4, 0
	v_add_f64_e64 v[22:23], v[46:47], -v[22:23]
	v_add_f64_e64 v[24:25], v[48:49], -v[24:25]
	;; [unrolled: 1-line block ×12, first 2 shown]
	v_fma_f64 v[46:47], v[46:47], 2.0, -v[22:23]
	v_fma_f64 v[48:49], v[48:49], 2.0, -v[24:25]
	;; [unrolled: 1-line block ×12, first 2 shown]
	v_lshlrev_b32_e32 v14, 1, v58
	v_lshlrev_b32_e32 v13, 1, v60
	;; [unrolled: 1-line block ×3, first 2 shown]
	v_and_b32_e32 v0, 3, v58
	s_delay_alu instid0(VALU_DEP_4) | instskip(NEXT) | instid1(VALU_DEP_4)
	v_and_or_b32 v14, 0x7c, v14, v86
	v_and_or_b32 v13, 0xfc, v13, v87
	s_delay_alu instid0(VALU_DEP_4) | instskip(NEXT) | instid1(VALU_DEP_4)
	v_and_or_b32 v15, 0x1fc, v15, v88
	v_lshlrev_b32_e32 v81, 5, v0
	s_delay_alu instid0(VALU_DEP_4) | instskip(NEXT) | instid1(VALU_DEP_4)
	v_lshl_add_u32 v14, v14, 4, 0
	v_lshl_add_u32 v13, v13, 4, 0
	s_delay_alu instid0(VALU_DEP_4)
	v_lshl_add_u32 v15, v15, 4, 0
	ds_store_b128 v14, v[22:25] offset:32
	ds_store_b128 v14, v[46:49]
	ds_store_b128 v13, v[50:53]
	ds_store_b128 v13, v[26:29] offset:32
	ds_store_b128 v54, v[76:79]
	ds_store_b128 v54, v[30:33] offset:32
	;; [unrolled: 2-line block ×5, first 2 shown]
	v_and_b32_e32 v1, 3, v60
	global_wb scope:SCOPE_SE
	s_wait_dscnt 0x0
	s_barrier_signal -1
	s_barrier_wait -1
	global_inv scope:SCOPE_SE
	global_load_b128 v[4:7], v81, s[8:9] offset:32
	v_lshlrev_b32_e32 v22, 5, v1
	global_load_b128 v[8:11], v81, s[8:9] offset:48
	v_and_b32_e32 v2, 3, v67
	v_and_b32_e32 v3, 3, v66
	global_load_b128 v[12:15], v22, s[8:9] offset:32
	v_lshlrev_b32_e32 v30, 5, v2
	s_clause 0x1
	global_load_b128 v[22:25], v22, s[8:9] offset:48
	global_load_b128 v[26:29], v30, s[8:9] offset:32
	v_lshlrev_b32_e32 v38, 5, v3
	s_clause 0x2
	global_load_b128 v[30:33], v30, s[8:9] offset:48
	global_load_b128 v[34:37], v38, s[8:9] offset:32
	;; [unrolled: 1-line block ×3, first 2 shown]
	ds_load_b128 v[42:45], v19
	ds_load_b128 v[46:49], v69 offset:8064
	ds_load_b128 v[50:53], v69 offset:5040
	ds_load_b128 v[76:79], v18
	ds_load_b128 v[80:83], v69 offset:9072
	ds_load_b128 v[84:87], v69
	ds_load_b128 v[88:91], v69 offset:6048
	ds_load_b128 v[92:95], v69 offset:10080
	;; [unrolled: 1-line block ×4, first 2 shown]
	s_wait_loadcnt_dscnt 0x709
	v_mul_f64_e32 v[54:55], v[44:45], v[6:7]
	v_mul_f64_e32 v[6:7], v[42:43], v[6:7]
	s_wait_loadcnt_dscnt 0x608
	v_mul_f64_e32 v[104:105], v[48:49], v[10:11]
	v_mul_f64_e32 v[10:11], v[46:47], v[10:11]
	;; [unrolled: 3-line block ×3, first 2 shown]
	v_fma_f64 v[42:43], v[42:43], v[4:5], v[54:55]
	v_fma_f64 v[44:45], v[44:45], v[4:5], -v[6:7]
	s_wait_loadcnt_dscnt 0x405
	v_mul_f64_e32 v[4:5], v[82:83], v[24:25]
	v_mul_f64_e32 v[6:7], v[80:81], v[24:25]
	s_wait_loadcnt_dscnt 0x303
	v_mul_f64_e32 v[24:25], v[90:91], v[28:29]
	v_mul_f64_e32 v[28:29], v[88:89], v[28:29]
	v_fma_f64 v[46:47], v[46:47], v[8:9], v[104:105]
	v_fma_f64 v[48:49], v[48:49], v[8:9], -v[10:11]
	s_wait_loadcnt_dscnt 0x202
	v_mul_f64_e32 v[8:9], v[94:95], v[32:33]
	v_mul_f64_e32 v[10:11], v[92:93], v[32:33]
	s_wait_loadcnt_dscnt 0x101
	v_mul_f64_e32 v[32:33], v[98:99], v[36:37]
	s_wait_loadcnt_dscnt 0x0
	v_mul_f64_e32 v[54:55], v[102:103], v[40:41]
	v_fma_f64 v[50:51], v[50:51], v[12:13], v[106:107]
	v_fma_f64 v[12:13], v[52:53], v[12:13], -v[14:15]
	v_mul_f64_e32 v[14:15], v[96:97], v[36:37]
	v_mul_f64_e32 v[36:37], v[100:101], v[40:41]
	v_fma_f64 v[40:41], v[80:81], v[22:23], v[4:5]
	v_fma_f64 v[22:23], v[82:83], v[22:23], -v[6:7]
	v_fma_f64 v[24:25], v[88:89], v[26:27], v[24:25]
	v_fma_f64 v[26:27], v[90:91], v[26:27], -v[28:29]
	ds_load_b128 v[4:7], v16
	v_fma_f64 v[52:53], v[92:93], v[30:31], v[8:9]
	v_fma_f64 v[28:29], v[94:95], v[30:31], -v[10:11]
	ds_load_b128 v[8:11], v17
	v_fma_f64 v[30:31], v[96:97], v[34:35], v[32:33]
	v_fma_f64 v[32:33], v[100:101], v[38:39], v[54:55]
	v_add_f64_e32 v[94:95], v[84:85], v[42:43]
	v_fma_f64 v[14:15], v[98:99], v[34:35], -v[14:15]
	v_fma_f64 v[34:35], v[102:103], v[38:39], -v[36:37]
	v_add_f64_e32 v[36:37], v[42:43], v[46:47]
	v_add_f64_e32 v[38:39], v[44:45], v[48:49]
	;; [unrolled: 1-line block ×3, first 2 shown]
	v_add_f64_e64 v[44:45], v[44:45], -v[48:49]
	v_add_f64_e64 v[42:43], v[42:43], -v[46:47]
	global_wb scope:SCOPE_SE
	s_wait_dscnt 0x0
	s_barrier_signal -1
	s_barrier_wait -1
	global_inv scope:SCOPE_SE
	v_add_f64_e32 v[98:99], v[4:5], v[50:51]
	v_add_f64_e32 v[100:101], v[6:7], v[12:13]
	;; [unrolled: 1-line block ×4, first 2 shown]
	v_add_f64_e64 v[50:51], v[50:51], -v[40:41]
	v_add_f64_e32 v[104:105], v[10:11], v[26:27]
	v_add_f64_e32 v[102:103], v[8:9], v[24:25]
	;; [unrolled: 1-line block ×4, first 2 shown]
	v_add_f64_e64 v[26:27], v[26:27], -v[28:29]
	v_add_f64_e32 v[106:107], v[76:77], v[30:31]
	v_add_f64_e32 v[90:91], v[30:31], v[32:33]
	v_add_f64_e64 v[24:25], v[24:25], -v[52:53]
	v_add_f64_e32 v[108:109], v[78:79], v[14:15]
	v_add_f64_e32 v[92:93], v[14:15], v[34:35]
	v_fma_f64 v[36:37], v[36:37], -0.5, v[84:85]
	v_fma_f64 v[38:39], v[38:39], -0.5, v[86:87]
	v_add_f64_e64 v[84:85], v[12:13], -v[22:23]
	v_add_f64_e64 v[110:111], v[30:31], -v[32:33]
	v_fma_f64 v[54:55], v[54:55], -0.5, v[4:5]
	v_fma_f64 v[80:81], v[80:81], -0.5, v[6:7]
	v_and_b32_e32 v4, 0xff, v58
	v_add_f64_e32 v[6:7], v[96:97], v[48:49]
	v_add_f64_e32 v[12:13], v[102:103], v[52:53]
	v_fma_f64 v[82:83], v[82:83], -0.5, v[8:9]
	v_fma_f64 v[86:87], v[88:89], -0.5, v[10:11]
	v_add_f64_e64 v[88:89], v[14:15], -v[34:35]
	v_mul_lo_u16 v116, 0xab, v4
	v_fma_f64 v[90:91], v[90:91], -0.5, v[76:77]
	v_add_f64_e32 v[4:5], v[94:95], v[46:47]
	v_add_f64_e32 v[14:15], v[104:105], v[28:29]
	v_fma_f64 v[92:93], v[92:93], -0.5, v[78:79]
	v_add_f64_e32 v[28:29], v[106:107], v[32:33]
	v_add_f64_e32 v[30:31], v[108:109], v[34:35]
	v_fma_f64 v[32:33], v[44:45], s[4:5], v[36:37]
	s_wait_alu 0xfffe
	v_fma_f64 v[34:35], v[42:43], s[10:11], v[38:39]
	v_fma_f64 v[36:37], v[44:45], s[10:11], v[36:37]
	;; [unrolled: 1-line block ×3, first 2 shown]
	v_add_f64_e32 v[10:11], v[100:101], v[22:23]
	v_add_f64_e32 v[8:9], v[98:99], v[40:41]
	v_mul_u32_u24_e32 v22, 12, v112
	v_mul_lo_u32 v23, v113, 12
	s_delay_alu instid0(VALU_DEP_2) | instskip(NEXT) | instid1(VALU_DEP_2)
	v_or_b32_e32 v0, v22, v0
	v_or_b32_e32 v1, v23, v1
	s_delay_alu instid0(VALU_DEP_2) | instskip(SKIP_1) | instid1(VALU_DEP_3)
	v_lshl_add_u32 v0, v0, 4, 0
	v_and_b32_e32 v23, 0xff, v67
	v_lshl_add_u32 v1, v1, 4, 0
	v_fma_f64 v[40:41], v[84:85], s[4:5], v[54:55]
	v_fma_f64 v[42:43], v[50:51], s[10:11], v[80:81]
	v_fma_f64 v[44:45], v[84:85], s[10:11], v[54:55]
	v_fma_f64 v[46:47], v[50:51], s[4:5], v[80:81]
	v_mul_lo_u32 v84, v115, 12
	v_fma_f64 v[48:49], v[26:27], s[4:5], v[82:83]
	v_fma_f64 v[50:51], v[24:25], s[10:11], v[86:87]
	;; [unrolled: 1-line block ×6, first 2 shown]
	v_lshrrev_b16 v24, 11, v116
	v_fma_f64 v[78:79], v[110:111], s[10:11], v[92:93]
	v_fma_f64 v[82:83], v[110:111], s[4:5], v[92:93]
	v_mul_lo_u32 v25, v114, 12
	v_and_b32_e32 v27, 0xff, v60
	v_mul_lo_u16 v26, v24, 12
	v_or_b32_e32 v3, v84, v3
	v_and_b32_e32 v24, 0xffff, v24
	s_delay_alu instid0(VALU_DEP_4) | instskip(NEXT) | instid1(VALU_DEP_4)
	v_mul_lo_u16 v85, 0xab, v27
	v_sub_nc_u16 v22, v58, v26
	v_or_b32_e32 v2, v25, v2
	v_lshl_add_u32 v3, v3, 4, 0
	s_delay_alu instid0(VALU_DEP_4) | instskip(NEXT) | instid1(VALU_DEP_4)
	v_lshrrev_b16 v26, 11, v85
	v_and_b32_e32 v25, 0xff, v22
	s_delay_alu instid0(VALU_DEP_4)
	v_lshl_add_u32 v2, v2, 4, 0
	ds_store_b128 v0, v[4:7]
	ds_store_b128 v0, v[32:35] offset:64
	ds_store_b128 v0, v[36:39] offset:128
	ds_store_b128 v1, v[8:11]
	ds_store_b128 v1, v[40:43] offset:64
	ds_store_b128 v1, v[44:47] offset:128
	ds_store_b128 v2, v[12:15]
	ds_store_b128 v2, v[48:51] offset:64
	ds_store_b128 v2, v[52:55] offset:128
	ds_store_b128 v3, v[28:31]
	ds_store_b128 v3, v[76:79] offset:64
	ds_store_b128 v3, v[80:83] offset:128
	v_lshlrev_b32_e32 v22, 5, v25
	global_wb scope:SCOPE_SE
	s_wait_dscnt 0x0
	s_barrier_signal -1
	s_barrier_wait -1
	global_inv scope:SCOPE_SE
	global_load_b128 v[4:7], v22, s[8:9] offset:160
	v_mul_lo_u16 v8, v26, 12
	global_load_b128 v[0:3], v22, s[8:9] offset:176
	v_mul_lo_u16 v29, 0xab, v23
	v_and_b32_e32 v26, 0xffff, v26
	v_sub_nc_u16 v8, v60, v8
	s_delay_alu instid0(VALU_DEP_3) | instskip(NEXT) | instid1(VALU_DEP_3)
	v_lshrrev_b16 v31, 11, v29
	v_mul_u32_u24_e32 v26, 0x240, v26
	s_delay_alu instid0(VALU_DEP_3) | instskip(NEXT) | instid1(VALU_DEP_3)
	v_and_b32_e32 v28, 0xff, v8
	v_mul_lo_u16 v30, v31, 12
	v_and_b32_e32 v31, 0xffff, v31
	s_delay_alu instid0(VALU_DEP_3) | instskip(SKIP_1) | instid1(VALU_DEP_3)
	v_lshlrev_b32_e32 v8, 5, v28
	v_lshlrev_b32_e32 v28, 4, v28
	v_mul_u32_u24_e32 v31, 0x240, v31
	s_clause 0x1
	global_load_b128 v[12:15], v8, s[8:9] offset:160
	global_load_b128 v[8:11], v8, s[8:9] offset:176
	v_and_b32_e32 v22, 0xff, v66
	v_add3_u32 v26, 0, v26, v28
	s_delay_alu instid0(VALU_DEP_2) | instskip(NEXT) | instid1(VALU_DEP_1)
	v_mul_lo_u16 v29, 0xab, v22
	v_lshrrev_b16 v32, 11, v29
	v_sub_nc_u16 v29, v67, v30
	s_delay_alu instid0(VALU_DEP_2) | instskip(NEXT) | instid1(VALU_DEP_2)
	v_mul_lo_u16 v30, v32, 12
	v_and_b32_e32 v29, 0xff, v29
	v_and_b32_e32 v32, 0xffff, v32
	s_delay_alu instid0(VALU_DEP_3) | instskip(NEXT) | instid1(VALU_DEP_3)
	v_sub_nc_u16 v30, v66, v30
	v_lshlrev_b32_e32 v37, 5, v29
	s_delay_alu instid0(VALU_DEP_3) | instskip(SKIP_1) | instid1(VALU_DEP_4)
	v_mul_u32_u24_e32 v32, 0x240, v32
	v_lshlrev_b32_e32 v29, 4, v29
	v_and_b32_e32 v30, 0xff, v30
	global_load_b128 v[33:36], v37, s[8:9] offset:160
	v_add3_u32 v28, 0, v31, v29
	v_lshlrev_b32_e32 v45, 5, v30
	s_clause 0x2
	global_load_b128 v[37:40], v37, s[8:9] offset:176
	global_load_b128 v[41:44], v45, s[8:9] offset:160
	global_load_b128 v[45:48], v45, s[8:9] offset:176
	ds_load_b128 v[49:52], v19
	ds_load_b128 v[76:79], v69 offset:8064
	ds_load_b128 v[80:83], v69 offset:5040
	ds_load_b128 v[84:87], v18
	ds_load_b128 v[88:91], v69 offset:9072
	ds_load_b128 v[92:95], v69
	ds_load_b128 v[96:99], v69 offset:6048
	v_lshlrev_b32_e32 v30, 4, v30
	s_delay_alu instid0(VALU_DEP_1)
	v_add3_u32 v29, 0, v32, v30
	s_wait_loadcnt_dscnt 0x706
	v_mul_f64_e32 v[53:54], v[51:52], v[6:7]
	v_mul_f64_e32 v[6:7], v[49:50], v[6:7]
	s_wait_loadcnt_dscnt 0x605
	v_mul_f64_e32 v[100:101], v[78:79], v[2:3]
	v_mul_f64_e32 v[102:103], v[76:77], v[2:3]
	;; [unrolled: 3-line block ×4, first 2 shown]
	v_fma_f64 v[53:54], v[49:50], v[4:5], v[53:54]
	v_fma_f64 v[108:109], v[51:52], v[4:5], -v[6:7]
	ds_load_b128 v[2:5], v69 offset:7056
	ds_load_b128 v[49:52], v69 offset:10080
	v_fma_f64 v[100:101], v[76:77], v[0:1], v[100:101]
	v_fma_f64 v[102:103], v[78:79], v[0:1], -v[102:103]
	ds_load_b128 v[76:79], v69 offset:11088
	s_wait_loadcnt_dscnt 0x303
	v_mul_f64_e32 v[0:1], v[98:99], v[35:36]
	v_mul_f64_e32 v[6:7], v[96:97], v[35:36]
	v_fma_f64 v[35:36], v[80:81], v[12:13], v[104:105]
	v_fma_f64 v[12:13], v[82:83], v[12:13], -v[14:15]
	s_wait_loadcnt_dscnt 0x201
	v_mul_f64_e32 v[14:15], v[51:52], v[39:40]
	v_mul_f64_e32 v[39:40], v[49:50], v[39:40]
	s_wait_loadcnt 0x1
	v_mul_f64_e32 v[80:81], v[4:5], v[43:44]
	s_wait_loadcnt_dscnt 0x0
	v_mul_f64_e32 v[82:83], v[78:79], v[47:48]
	v_fma_f64 v[88:89], v[88:89], v[8:9], v[106:107]
	v_fma_f64 v[8:9], v[90:91], v[8:9], -v[10:11]
	v_mul_f64_e32 v[10:11], v[2:3], v[43:44]
	v_mul_f64_e32 v[43:44], v[76:77], v[47:48]
	v_fma_f64 v[47:48], v[96:97], v[33:34], v[0:1]
	v_fma_f64 v[33:34], v[98:99], v[33:34], -v[6:7]
	v_add_f64_e32 v[96:97], v[92:93], v[53:54]
	v_add_f64_e32 v[98:99], v[94:95], v[108:109]
	v_fma_f64 v[14:15], v[49:50], v[37:38], v[14:15]
	v_fma_f64 v[37:38], v[51:52], v[37:38], -v[39:40]
	v_fma_f64 v[39:40], v[2:3], v[41:42], v[80:81]
	v_fma_f64 v[49:50], v[76:77], v[45:46], v[82:83]
	v_add_f64_e32 v[51:52], v[35:36], v[88:89]
	v_add_f64_e32 v[76:77], v[12:13], v[8:9]
	v_fma_f64 v[10:11], v[4:5], v[41:42], -v[10:11]
	v_fma_f64 v[41:42], v[78:79], v[45:46], -v[43:44]
	v_add_f64_e32 v[43:44], v[53:54], v[100:101]
	v_add_f64_e32 v[45:46], v[108:109], v[102:103]
	ds_load_b128 v[0:3], v16
	ds_load_b128 v[4:7], v17
	v_add_f64_e64 v[108:109], v[108:109], -v[102:103]
	v_add_f64_e64 v[53:54], v[53:54], -v[100:101]
	;; [unrolled: 1-line block ×4, first 2 shown]
	global_wb scope:SCOPE_SE
	s_wait_dscnt 0x0
	s_barrier_signal -1
	s_barrier_wait -1
	global_inv scope:SCOPE_SE
	v_add_f64_e32 v[106:107], v[2:3], v[12:13]
	v_add_f64_e32 v[110:111], v[6:7], v[33:34]
	;; [unrolled: 1-line block ×6, first 2 shown]
	v_add_f64_e64 v[118:119], v[33:34], -v[37:38]
	v_add_f64_e32 v[82:83], v[39:40], v[49:50]
	v_fma_f64 v[51:52], v[51:52], -0.5, v[0:1]
	v_fma_f64 v[76:77], v[76:77], -0.5, v[2:3]
	v_add_f64_e64 v[120:121], v[47:48], -v[14:15]
	v_add_f64_e32 v[90:91], v[10:11], v[41:42]
	v_fma_f64 v[43:44], v[43:44], -0.5, v[92:93]
	v_fma_f64 v[45:46], v[45:46], -0.5, v[94:95]
	v_add_f64_e32 v[92:93], v[86:87], v[10:11]
	v_add_f64_e32 v[94:95], v[84:85], v[39:40]
	v_add_f64_e64 v[122:123], v[10:11], -v[41:42]
	v_add_f64_e64 v[124:125], v[39:40], -v[49:50]
	v_subrev_nc_u32_e32 v0, 36, v58
	v_add_f64_e32 v[2:3], v[98:99], v[102:103]
	s_wait_alu 0xf1ff
	s_delay_alu instid0(VALU_DEP_2) | instskip(SKIP_1) | instid1(VALU_DEP_1)
	v_cndmask_b32_e64 v33, v0, v58, s0
	v_mul_lo_u16 v0, v27, 57
	v_lshrrev_b16 v27, 11, v0
	v_add_f64_e32 v[0:1], v[96:97], v[100:101]
	v_add_f64_e32 v[10:11], v[110:111], v[37:38]
	v_fma_f64 v[78:79], v[78:79], -0.5, v[4:5]
	v_fma_f64 v[80:81], v[80:81], -0.5, v[6:7]
	v_add_f64_e32 v[6:7], v[106:107], v[8:9]
	v_fma_f64 v[82:83], v[82:83], -0.5, v[84:85]
	v_add_f64_e32 v[8:9], v[112:113], v[14:15]
	v_add_f64_e32 v[4:5], v[104:105], v[88:89]
	v_mul_u32_u24_e32 v89, 0x240, v24
	v_fma_f64 v[86:87], v[90:91], -0.5, v[86:87]
	v_fma_f64 v[34:35], v[108:109], s[4:5], v[43:44]
	v_fma_f64 v[36:37], v[53:54], s[10:11], v[45:46]
	v_add_f64_e32 v[14:15], v[92:93], v[41:42]
	v_fma_f64 v[38:39], v[108:109], s[10:11], v[43:44]
	v_fma_f64 v[40:41], v[53:54], s[4:5], v[45:46]
	;; [unrolled: 1-line block ×4, first 2 shown]
	v_add_f64_e32 v[12:13], v[94:95], v[49:50]
	v_fma_f64 v[46:47], v[114:115], s[10:11], v[51:52]
	v_fma_f64 v[48:49], v[116:117], s[4:5], v[76:77]
	v_dual_mov_b32 v91, 0 :: v_dual_lshlrev_b32 v90, 1, v33
	v_mul_lo_u16 v88, v27, 36
	v_and_b32_e32 v27, 0xffff, v27
	v_lshlrev_b32_e32 v33, 4, v33
	s_delay_alu instid0(VALU_DEP_4) | instskip(SKIP_1) | instid1(VALU_DEP_4)
	v_lshlrev_b64_e32 v[54:55], 4, v[90:91]
	v_lshlrev_b32_e32 v90, 4, v25
	v_mul_u32_u24_e32 v27, 0x6c0, v27
	s_delay_alu instid0(VALU_DEP_3) | instskip(SKIP_1) | instid1(VALU_DEP_4)
	v_add_co_u32 v24, s0, s8, v54
	s_wait_alu 0xf1ff
	v_add_co_ci_u32_e64 v25, s0, s9, v55, s0
	v_add3_u32 v54, 0, v89, v90
	v_cmp_lt_u32_e64 s0, 35, v58
	v_fma_f64 v[50:51], v[118:119], s[4:5], v[78:79]
	v_fma_f64 v[52:53], v[120:121], s[10:11], v[80:81]
	v_fma_f64 v[76:77], v[118:119], s[10:11], v[78:79]
	v_fma_f64 v[78:79], v[120:121], s[4:5], v[80:81]
	v_fma_f64 v[80:81], v[122:123], s[4:5], v[82:83]
	v_fma_f64 v[84:85], v[122:123], s[10:11], v[82:83]
	v_fma_f64 v[82:83], v[124:125], s[10:11], v[86:87]
	v_fma_f64 v[86:87], v[124:125], s[4:5], v[86:87]
	ds_store_b128 v54, v[0:3]
	ds_store_b128 v54, v[34:37] offset:192
	ds_store_b128 v54, v[38:41] offset:384
	ds_store_b128 v26, v[4:7]
	ds_store_b128 v26, v[42:45] offset:192
	ds_store_b128 v26, v[46:49] offset:384
	;; [unrolled: 3-line block ×4, first 2 shown]
	global_wb scope:SCOPE_SE
	s_wait_dscnt 0x0
	s_barrier_signal -1
	s_barrier_wait -1
	global_inv scope:SCOPE_SE
	global_load_b128 v[0:3], v[24:25], off offset:544
	v_sub_nc_u16 v4, v60, v88
	v_mul_lo_u16 v13, v23, 57
	s_delay_alu instid0(VALU_DEP_2)
	v_and_b32_e32 v26, 0xff, v4
	global_load_b128 v[4:7], v[24:25], off offset:560
	v_lshrrev_b16 v32, 11, v13
	v_mul_lo_u16 v13, v22, 57
	v_lshlrev_b32_e32 v12, 5, v26
	v_lshlrev_b32_e32 v26, 4, v26
	s_delay_alu instid0(VALU_DEP_4) | instskip(NEXT) | instid1(VALU_DEP_4)
	v_mul_lo_u16 v14, v32, 36
	v_lshrrev_b16 v112, 11, v13
	v_and_b32_e32 v32, 0xffff, v32
	global_load_b128 v[8:11], v12, s[8:9] offset:544
	v_add3_u32 v26, 0, v27, v26
	v_sub_nc_u16 v13, v67, v14
	v_mul_lo_u16 v14, v112, 36
	v_mul_u32_u24_e32 v32, 0x6c0, v32
	s_delay_alu instid0(VALU_DEP_3) | instskip(NEXT) | instid1(VALU_DEP_3)
	v_and_b32_e32 v113, 0xff, v13
	v_sub_nc_u16 v13, v66, v14
	s_delay_alu instid0(VALU_DEP_2) | instskip(NEXT) | instid1(VALU_DEP_2)
	v_lshlrev_b32_e32 v28, 5, v113
	v_and_b32_e32 v114, 0xff, v13
	s_clause 0x1
	global_load_b128 v[12:15], v12, s[8:9] offset:560
	global_load_b128 v[22:25], v28, s[8:9] offset:544
	v_lshlrev_b32_e32 v38, 5, v114
	s_clause 0x2
	global_load_b128 v[28:31], v28, s[8:9] offset:560
	global_load_b128 v[34:37], v38, s[8:9] offset:544
	;; [unrolled: 1-line block ×3, first 2 shown]
	ds_load_b128 v[42:45], v19
	ds_load_b128 v[46:49], v69 offset:8064
	ds_load_b128 v[50:53], v69 offset:5040
	ds_load_b128 v[76:79], v18
	ds_load_b128 v[80:83], v69 offset:9072
	ds_load_b128 v[84:87], v69
	ds_load_b128 v[88:91], v69 offset:6048
	ds_load_b128 v[92:95], v69 offset:10080
	;; [unrolled: 1-line block ×3, first 2 shown]
	s_wait_loadcnt_dscnt 0x708
	v_mul_f64_e32 v[18:19], v[44:45], v[2:3]
	v_mul_f64_e32 v[2:3], v[42:43], v[2:3]
	s_wait_loadcnt_dscnt 0x607
	v_mul_f64_e32 v[54:55], v[48:49], v[6:7]
	v_mul_f64_e32 v[6:7], v[46:47], v[6:7]
	s_wait_loadcnt_dscnt 0x506
	v_mul_f64_e32 v[100:101], v[52:53], v[10:11]
	v_mul_f64_e32 v[10:11], v[50:51], v[10:11]
	s_wait_loadcnt_dscnt 0x302
	v_mul_f64_e32 v[102:103], v[90:91], v[24:25]
	v_fma_f64 v[18:19], v[42:43], v[0:1], v[18:19]
	v_fma_f64 v[42:43], v[44:45], v[0:1], -v[2:3]
	ds_load_b128 v[0:3], v69 offset:11088
	v_mul_f64_e32 v[44:45], v[82:83], v[14:15]
	v_mul_f64_e32 v[14:15], v[80:81], v[14:15]
	v_fma_f64 v[46:47], v[46:47], v[4:5], v[54:55]
	v_fma_f64 v[48:49], v[48:49], v[4:5], -v[6:7]
	v_mul_f64_e32 v[4:5], v[88:89], v[24:25]
	s_wait_loadcnt_dscnt 0x202
	v_mul_f64_e32 v[6:7], v[94:95], v[30:31]
	v_mul_f64_e32 v[24:25], v[92:93], v[30:31]
	s_wait_loadcnt_dscnt 0x101
	v_mul_f64_e32 v[30:31], v[98:99], v[36:37]
	v_mul_f64_e32 v[36:37], v[96:97], v[36:37]
	v_fma_f64 v[50:51], v[50:51], v[8:9], v[100:101]
	v_fma_f64 v[8:9], v[52:53], v[8:9], -v[10:11]
	s_wait_loadcnt_dscnt 0x0
	v_mul_f64_e32 v[10:11], v[2:3], v[40:41]
	v_mul_f64_e32 v[40:41], v[0:1], v[40:41]
	v_fma_f64 v[44:45], v[80:81], v[12:13], v[44:45]
	v_fma_f64 v[12:13], v[82:83], v[12:13], -v[14:15]
	v_fma_f64 v[14:15], v[88:89], v[22:23], v[102:103]
	v_fma_f64 v[22:23], v[90:91], v[22:23], -v[4:5]
	;; [unrolled: 2-line block ×4, first 2 shown]
	v_add_f64_e32 v[30:31], v[18:19], v[46:47]
	v_add_f64_e32 v[34:35], v[42:43], v[48:49]
	ds_load_b128 v[4:7], v17
	v_add_f64_e32 v[90:91], v[84:85], v[18:19]
	v_add_f64_e32 v[92:93], v[86:87], v[42:43]
	v_add_f64_e64 v[42:43], v[42:43], -v[48:49]
	v_add_f64_e64 v[18:19], v[18:19], -v[46:47]
	v_fma_f64 v[10:11], v[0:1], v[38:39], v[10:11]
	v_fma_f64 v[38:39], v[2:3], v[38:39], -v[40:41]
	ds_load_b128 v[0:3], v16
	global_wb scope:SCOPE_SE
	s_wait_dscnt 0x0
	s_barrier_signal -1
	s_barrier_wait -1
	global_inv scope:SCOPE_SE
	v_add_f64_e32 v[36:37], v[50:51], v[44:45]
	v_add_f64_e32 v[40:41], v[8:9], v[12:13]
	v_add_f64_e64 v[106:107], v[8:9], -v[12:13]
	v_add_f64_e32 v[94:95], v[0:1], v[50:51]
	v_add_f64_e32 v[96:97], v[2:3], v[8:9]
	v_add_f64_e64 v[108:109], v[50:51], -v[44:45]
	v_add_f64_e32 v[98:99], v[4:5], v[14:15]
	v_add_f64_e32 v[80:81], v[14:15], v[52:53]
	;; [unrolled: 1-line block ×5, first 2 shown]
	v_fma_f64 v[84:85], v[30:31], -0.5, v[84:85]
	v_fma_f64 v[86:87], v[34:35], -0.5, v[86:87]
	v_add_f64_e32 v[100:101], v[6:7], v[22:23]
	v_add_f64_e64 v[110:111], v[22:23], -v[54:55]
	v_add_f64_e64 v[14:15], v[14:15], -v[52:53]
	v_add_f64_e32 v[22:23], v[90:91], v[46:47]
	v_add_f64_e32 v[88:89], v[24:25], v[10:11]
	;; [unrolled: 1-line block ×3, first 2 shown]
	v_fma_f64 v[0:1], v[36:37], -0.5, v[0:1]
	v_fma_f64 v[2:3], v[40:41], -0.5, v[2:3]
	v_add_f64_e32 v[30:31], v[96:97], v[12:13]
	v_add_f64_e32 v[34:35], v[98:99], v[52:53]
	v_fma_f64 v[4:5], v[80:81], -0.5, v[4:5]
	v_fma_f64 v[6:7], v[82:83], -0.5, v[6:7]
	v_add_f64_e64 v[80:81], v[28:29], -v[38:39]
	v_add_f64_e64 v[82:83], v[24:25], -v[10:11]
	v_add_f64_e32 v[24:25], v[92:93], v[48:49]
	v_add_f64_e32 v[8:9], v[102:103], v[10:11]
	;; [unrolled: 1-line block ×3, first 2 shown]
	v_fma_f64 v[38:39], v[42:43], s[4:5], v[84:85]
	v_fma_f64 v[40:41], v[18:19], s[10:11], v[86:87]
	v_add_f64_e32 v[28:29], v[94:95], v[44:45]
	v_fma_f64 v[42:43], v[42:43], s[10:11], v[84:85]
	v_fma_f64 v[44:45], v[18:19], s[4:5], v[86:87]
	v_fma_f64 v[76:77], v[88:89], -0.5, v[76:77]
	v_fma_f64 v[78:79], v[16:17], -0.5, v[78:79]
	v_add_f64_e32 v[36:37], v[100:101], v[54:55]
	v_and_b32_e32 v54, 0xffff, v112
	s_wait_alu 0xf1ff
	v_cndmask_b32_e64 v55, 0, 0x6c0, s0
	v_cmp_gt_u32_e64 s0, 45, v58
	s_delay_alu instid0(VALU_DEP_3) | instskip(NEXT) | instid1(VALU_DEP_3)
	v_mul_u32_u24_e32 v54, 0x6c0, v54
	v_add3_u32 v33, 0, v55, v33
	v_fma_f64 v[46:47], v[106:107], s[4:5], v[0:1]
	v_fma_f64 v[48:49], v[108:109], s[10:11], v[2:3]
	;; [unrolled: 1-line block ×12, first 2 shown]
	v_lshlrev_b32_e32 v76, 4, v113
	v_lshlrev_b32_e32 v77, 4, v114
	s_delay_alu instid0(VALU_DEP_2) | instskip(NEXT) | instid1(VALU_DEP_2)
	v_add3_u32 v27, 0, v32, v76
	v_add3_u32 v32, 0, v54, v77
	ds_store_b128 v33, v[22:25]
	ds_store_b128 v33, v[38:41] offset:576
	ds_store_b128 v33, v[42:45] offset:1152
	ds_store_b128 v26, v[28:31]
	ds_store_b128 v26, v[46:49] offset:576
	ds_store_b128 v26, v[50:53] offset:1152
	;; [unrolled: 3-line block ×4, first 2 shown]
	global_wb scope:SCOPE_SE
	s_wait_dscnt 0x0
	s_barrier_signal -1
	s_barrier_wait -1
	global_inv scope:SCOPE_SE
	ds_load_b128 v[28:31], v69
	ds_load_b128 v[48:51], v69 offset:1728
	ds_load_b128 v[44:47], v69 offset:3456
	;; [unrolled: 1-line block ×6, first 2 shown]
	v_add_nc_u32_e32 v76, v20, v21
                                        ; implicit-def: $vgpr26_vgpr27
                                        ; implicit-def: $vgpr22_vgpr23
	s_and_saveexec_b32 s1, s0
	s_cbranch_execz .LBB0_15
; %bb.14:
	ds_load_b128 v[0:3], v76
	ds_load_b128 v[4:7], v69 offset:2736
	ds_load_b128 v[8:11], v69 offset:4464
	;; [unrolled: 1-line block ×6, first 2 shown]
.LBB0_15:
	s_wait_alu 0xfffe
	s_or_b32 exec_lo, exec_lo, s1
	v_mul_u32_u24_e32 v77, 6, v58
	s_mov_b32 s10, 0x37e14327
	s_mov_b32 s12, 0xe976ee23
	;; [unrolled: 1-line block ×4, first 2 shown]
	v_lshlrev_b32_e32 v97, 4, v77
	s_mov_b32 s4, 0x429ad128
	s_mov_b32 s5, 0xbfebfeb5
	;; [unrolled: 1-line block ×4, first 2 shown]
	s_clause 0x5
	global_load_b128 v[77:80], v97, s[8:9] offset:1696
	global_load_b128 v[81:84], v97, s[8:9] offset:1712
	;; [unrolled: 1-line block ×6, first 2 shown]
	s_mov_b32 s14, 0xaaaaaaaa
	s_mov_b32 s22, 0xb247c609
	;; [unrolled: 1-line block ×12, first 2 shown]
	global_wb scope:SCOPE_SE
	s_wait_loadcnt_dscnt 0x0
	s_barrier_signal -1
	s_barrier_wait -1
	global_inv scope:SCOPE_SE
	v_mul_f64_e32 v[101:102], v[50:51], v[79:80]
	v_mul_f64_e32 v[79:80], v[48:49], v[79:80]
	;; [unrolled: 1-line block ×12, first 2 shown]
	v_fma_f64 v[48:49], v[48:49], v[77:78], v[101:102]
	v_fma_f64 v[50:51], v[50:51], v[77:78], -v[79:80]
	v_fma_f64 v[44:45], v[44:45], v[81:82], v[103:104]
	v_fma_f64 v[46:47], v[46:47], v[81:82], -v[83:84]
	v_fma_f64 v[52:53], v[52:53], v[85:86], v[105:106]
	v_fma_f64 v[54:55], v[54:55], v[85:86], -v[87:88]
	v_fma_f64 v[40:41], v[40:41], v[89:90], v[107:108]
	v_fma_f64 v[42:43], v[42:43], v[89:90], -v[91:92]
	v_fma_f64 v[36:37], v[36:37], v[93:94], v[109:110]
	v_fma_f64 v[38:39], v[38:39], v[93:94], -v[95:96]
	v_fma_f64 v[32:33], v[32:33], v[97:98], v[111:112]
	v_fma_f64 v[34:35], v[34:35], v[97:98], -v[99:100]
	v_add_f64_e32 v[77:78], v[48:49], v[52:53]
	v_add_f64_e32 v[79:80], v[50:51], v[54:55]
	v_add_f64_e32 v[81:82], v[44:45], v[40:41]
	v_add_f64_e32 v[83:84], v[46:47], v[42:43]
	v_add_f64_e64 v[40:41], v[44:45], -v[40:41]
	v_add_f64_e64 v[42:43], v[46:47], -v[42:43]
	v_add_f64_e32 v[44:45], v[36:37], v[32:33]
	v_add_f64_e32 v[46:47], v[38:39], v[34:35]
	v_add_f64_e64 v[32:33], v[32:33], -v[36:37]
	v_add_f64_e64 v[34:35], v[34:35], -v[38:39]
	;; [unrolled: 1-line block ×4, first 2 shown]
	v_add_f64_e32 v[48:49], v[81:82], v[77:78]
	v_add_f64_e32 v[50:51], v[83:84], v[79:80]
	v_add_f64_e64 v[52:53], v[77:78], -v[44:45]
	v_add_f64_e64 v[54:55], v[79:80], -v[46:47]
	;; [unrolled: 1-line block ×6, first 2 shown]
	v_add_f64_e32 v[40:41], v[32:33], v[40:41]
	v_add_f64_e32 v[42:43], v[34:35], v[42:43]
	v_add_f64_e64 v[32:33], v[36:37], -v[32:33]
	v_add_f64_e64 v[34:35], v[38:39], -v[34:35]
	;; [unrolled: 1-line block ×4, first 2 shown]
	v_add_f64_e32 v[48:49], v[44:45], v[48:49]
	v_add_f64_e32 v[50:51], v[46:47], v[50:51]
	v_add_f64_e64 v[44:45], v[44:45], -v[81:82]
	v_add_f64_e64 v[46:47], v[46:47], -v[83:84]
	s_wait_alu 0xfffe
	v_mul_f64_e32 v[52:53], s[10:11], v[52:53]
	v_mul_f64_e32 v[54:55], s[10:11], v[54:55]
	;; [unrolled: 1-line block ×6, first 2 shown]
	v_add_f64_e32 v[36:37], v[40:41], v[36:37]
	v_add_f64_e32 v[38:39], v[42:43], v[38:39]
	;; [unrolled: 1-line block ×4, first 2 shown]
	v_mul_f64_e32 v[81:82], s[18:19], v[44:45]
	v_mul_f64_e32 v[83:84], s[18:19], v[46:47]
	v_fma_f64 v[40:41], v[44:45], s[18:19], v[52:53]
	v_fma_f64 v[42:43], v[46:47], s[18:19], v[54:55]
	;; [unrolled: 1-line block ×4, first 2 shown]
	v_fma_f64 v[85:86], v[89:90], s[4:5], -v[85:86]
	v_fma_f64 v[87:88], v[91:92], s[4:5], -v[87:88]
	;; [unrolled: 1-line block ×6, first 2 shown]
	v_fma_f64 v[48:49], v[48:49], s[14:15], v[28:29]
	v_fma_f64 v[50:51], v[50:51], s[14:15], v[30:31]
	v_fma_f64 v[77:78], v[77:78], s[16:17], -v[81:82]
	v_fma_f64 v[79:80], v[79:80], s[16:17], -v[83:84]
	v_fma_f64 v[81:82], v[36:37], s[26:27], v[44:45]
	v_fma_f64 v[83:84], v[38:39], s[26:27], v[46:47]
	;; [unrolled: 1-line block ×6, first 2 shown]
	v_add_f64_e32 v[89:90], v[40:41], v[48:49]
	v_add_f64_e32 v[91:92], v[42:43], v[50:51]
	;; [unrolled: 1-line block ×7, first 2 shown]
	v_add_f64_e64 v[34:35], v[91:92], -v[81:82]
	v_add_f64_e32 v[36:37], v[87:88], v[52:53]
	v_add_f64_e64 v[38:39], v[54:55], -v[85:86]
	v_add_f64_e64 v[40:41], v[48:49], -v[44:45]
	v_add_f64_e32 v[42:43], v[46:47], v[50:51]
	v_add_f64_e32 v[44:45], v[44:45], v[48:49]
	v_add_f64_e64 v[46:47], v[50:51], -v[46:47]
	v_add_f64_e64 v[48:49], v[52:53], -v[87:88]
	v_add_f64_e32 v[50:51], v[85:86], v[54:55]
	v_add_f64_e64 v[52:53], v[89:90], -v[83:84]
	v_add_f64_e32 v[54:55], v[81:82], v[91:92]
	ds_store_b128 v69, v[28:31]
	ds_store_b128 v69, v[32:35] offset:1728
	ds_store_b128 v69, v[36:39] offset:3456
	;; [unrolled: 1-line block ×6, first 2 shown]
	s_and_saveexec_b32 s1, s0
	s_cbranch_execz .LBB0_17
; %bb.16:
	v_subrev_nc_u32_e32 v28, 45, v58
	v_mov_b32_e32 v29, 0
	s_delay_alu instid0(VALU_DEP_2) | instskip(NEXT) | instid1(VALU_DEP_1)
	v_cndmask_b32_e64 v28, v28, v60, s0
	v_mul_i32_i24_e32 v28, 6, v28
	s_delay_alu instid0(VALU_DEP_1) | instskip(NEXT) | instid1(VALU_DEP_1)
	v_lshlrev_b64_e32 v[28:29], 4, v[28:29]
	v_add_co_u32 v48, s0, s8, v28
	s_wait_alu 0xf1ff
	s_delay_alu instid0(VALU_DEP_2)
	v_add_co_ci_u32_e64 v49, s0, s9, v29, s0
	s_clause 0x5
	global_load_b128 v[28:31], v[48:49], off offset:1712
	global_load_b128 v[32:35], v[48:49], off offset:1760
	;; [unrolled: 1-line block ×6, first 2 shown]
	s_wait_loadcnt 0x5
	v_mul_f64_e32 v[52:53], v[8:9], v[30:31]
	s_wait_loadcnt 0x4
	v_mul_f64_e32 v[54:55], v[20:21], v[34:35]
	;; [unrolled: 2-line block ×4, first 2 shown]
	v_mul_f64_e32 v[30:31], v[10:11], v[30:31]
	v_mul_f64_e32 v[34:35], v[22:23], v[34:35]
	v_mul_f64_e32 v[38:39], v[6:7], v[38:39]
	v_mul_f64_e32 v[42:43], v[26:27], v[42:43]
	s_wait_loadcnt 0x1
	v_mul_f64_e32 v[81:82], v[18:19], v[46:47]
	s_wait_loadcnt 0x0
	v_mul_f64_e32 v[83:84], v[14:15], v[50:51]
	v_mul_f64_e32 v[50:51], v[12:13], v[50:51]
	v_mul_f64_e32 v[46:47], v[16:17], v[46:47]
	v_fma_f64 v[10:11], v[10:11], v[28:29], -v[52:53]
	v_fma_f64 v[22:23], v[22:23], v[32:33], -v[54:55]
	;; [unrolled: 1-line block ×4, first 2 shown]
	v_fma_f64 v[8:9], v[8:9], v[28:29], v[30:31]
	v_fma_f64 v[20:21], v[20:21], v[32:33], v[34:35]
	;; [unrolled: 1-line block ×6, first 2 shown]
	v_fma_f64 v[14:15], v[14:15], v[48:49], -v[50:51]
	v_fma_f64 v[18:19], v[18:19], v[44:45], -v[46:47]
	v_add_f64_e32 v[28:29], v[10:11], v[22:23]
	v_add_f64_e64 v[10:11], v[10:11], -v[22:23]
	v_add_f64_e32 v[30:31], v[6:7], v[26:27]
	v_add_f64_e64 v[6:7], v[6:7], -v[26:27]
	;; [unrolled: 2-line block ×4, first 2 shown]
	v_add_f64_e64 v[36:37], v[16:17], -v[12:13]
	v_add_f64_e32 v[12:13], v[12:13], v[16:17]
	v_add_f64_e32 v[20:21], v[14:15], v[18:19]
	v_add_f64_e64 v[14:15], v[18:19], -v[14:15]
	v_add_f64_e32 v[16:17], v[28:29], v[30:31]
	v_add_f64_e64 v[42:43], v[10:11], -v[6:7]
	;; [unrolled: 2-line block ×3, first 2 shown]
	v_add_f64_e64 v[22:23], v[36:37], -v[8:9]
	v_add_f64_e64 v[26:27], v[34:35], -v[12:13]
	;; [unrolled: 1-line block ×4, first 2 shown]
	v_add_f64_e32 v[8:9], v[36:37], v[8:9]
	v_add_f64_e64 v[36:37], v[4:5], -v[36:37]
	v_add_f64_e32 v[10:11], v[14:15], v[10:11]
	v_add_f64_e64 v[14:15], v[6:7], -v[14:15]
	;; [unrolled: 2-line block ×3, first 2 shown]
	v_add_f64_e64 v[28:29], v[28:29], -v[30:31]
	v_mul_f64_e32 v[46:47], s[4:5], v[42:43]
	v_add_f64_e32 v[18:19], v[12:13], v[18:19]
	v_add_f64_e64 v[12:13], v[12:13], -v[32:33]
	v_mul_f64_e32 v[22:23], s[12:13], v[22:23]
	v_mul_f64_e32 v[26:27], s[10:11], v[26:27]
	;; [unrolled: 1-line block ×5, first 2 shown]
	v_add_f64_e64 v[32:33], v[32:33], -v[34:35]
	v_add_f64_e32 v[4:5], v[8:9], v[4:5]
	v_add_f64_e32 v[6:7], v[10:11], v[6:7]
	;; [unrolled: 1-line block ×3, first 2 shown]
	v_mul_f64_e32 v[30:31], s[18:19], v[20:21]
	v_add_f64_e32 v[0:1], v[0:1], v[18:19]
	v_mul_f64_e32 v[34:35], s[18:19], v[12:13]
	v_fma_f64 v[8:9], v[36:37], s[22:23], v[22:23]
	v_fma_f64 v[12:13], v[12:13], s[18:19], v[26:27]
	;; [unrolled: 1-line block ×3, first 2 shown]
	v_fma_f64 v[20:21], v[36:37], s[24:25], -v[44:45]
	v_fma_f64 v[22:23], v[38:39], s[4:5], -v[22:23]
	;; [unrolled: 1-line block ×5, first 2 shown]
	v_fma_f64 v[16:17], v[16:17], s[14:15], v[2:3]
	v_fma_f64 v[28:29], v[28:29], s[16:17], -v[30:31]
	v_fma_f64 v[30:31], v[14:15], s[22:23], v[40:41]
	v_fma_f64 v[14:15], v[14:15], s[24:25], -v[46:47]
	;; [unrolled: 2-line block ×3, first 2 shown]
	v_fma_f64 v[8:9], v[4:5], s[26:27], v[8:9]
	v_fma_f64 v[20:21], v[4:5], s[26:27], v[20:21]
	;; [unrolled: 1-line block ×4, first 2 shown]
	v_add_f64_e32 v[34:35], v[10:11], v[16:17]
	v_add_f64_e32 v[22:23], v[24:25], v[16:17]
	;; [unrolled: 1-line block ×3, first 2 shown]
	v_fma_f64 v[28:29], v[6:7], s[26:27], v[30:31]
	v_add_f64_e32 v[38:39], v[12:13], v[18:19]
	v_fma_f64 v[30:31], v[6:7], s[26:27], v[14:15]
	v_add_f64_e32 v[40:41], v[26:27], v[18:19]
	v_add_f64_e32 v[12:13], v[32:33], v[18:19]
	v_add_f64_e64 v[26:27], v[34:35], -v[8:9]
	v_add_f64_e32 v[10:11], v[20:21], v[22:23]
	v_add_f64_e64 v[22:23], v[22:23], -v[20:21]
	v_add_f64_e64 v[14:15], v[16:17], -v[4:5]
	v_add_f64_e32 v[24:25], v[28:29], v[38:39]
	v_add_f64_e32 v[18:19], v[4:5], v[16:17]
	;; [unrolled: 1-line block ×3, first 2 shown]
	v_add_f64_e64 v[16:17], v[12:13], -v[36:37]
	v_add_f64_e32 v[12:13], v[36:37], v[12:13]
	v_add_f64_e32 v[6:7], v[8:9], v[34:35]
	v_add_f64_e64 v[8:9], v[40:41], -v[30:31]
	v_add_f64_e64 v[4:5], v[38:39], -v[28:29]
	ds_store_b128 v69, v[0:3] offset:1008
	ds_store_b128 v69, v[24:27] offset:2736
	;; [unrolled: 1-line block ×7, first 2 shown]
.LBB0_17:
	s_wait_alu 0xfffe
	s_or_b32 exec_lo, exec_lo, s1
	global_wb scope:SCOPE_SE
	s_wait_dscnt 0x0
	s_barrier_signal -1
	s_barrier_wait -1
	global_inv scope:SCOPE_SE
	ds_load_b128 v[4:7], v69
	v_sub_nc_u32_e32 v12, 0, v59
	s_mov_b32 s1, exec_lo
                                        ; implicit-def: $vgpr0_vgpr1
                                        ; implicit-def: $vgpr8_vgpr9
                                        ; implicit-def: $vgpr10_vgpr11
	v_cmpx_ne_u32_e32 0, v58
	s_wait_alu 0xfffe
	s_xor_b32 s1, exec_lo, s1
	s_cbranch_execz .LBB0_19
; %bb.18:
	v_mov_b32_e32 v59, 0
	s_delay_alu instid0(VALU_DEP_1) | instskip(NEXT) | instid1(VALU_DEP_1)
	v_lshlrev_b64_e32 v[0:1], 4, v[58:59]
	v_add_co_u32 v0, s0, s8, v0
	s_wait_alu 0xf1ff
	s_delay_alu instid0(VALU_DEP_2)
	v_add_co_ci_u32_e64 v1, s0, s9, v1, s0
	global_load_b128 v[13:16], v[0:1], off offset:12064
	ds_load_b128 v[0:3], v12 offset:12096
	s_wait_dscnt 0x0
	v_add_f64_e64 v[8:9], v[4:5], -v[0:1]
	v_add_f64_e32 v[10:11], v[6:7], v[2:3]
	v_add_f64_e64 v[2:3], v[6:7], -v[2:3]
	v_add_f64_e32 v[0:1], v[4:5], v[0:1]
	s_delay_alu instid0(VALU_DEP_4) | instskip(NEXT) | instid1(VALU_DEP_4)
	v_mul_f64_e32 v[6:7], 0.5, v[8:9]
	v_mul_f64_e32 v[4:5], 0.5, v[10:11]
	s_delay_alu instid0(VALU_DEP_4) | instskip(SKIP_1) | instid1(VALU_DEP_3)
	v_mul_f64_e32 v[2:3], 0.5, v[2:3]
	s_wait_loadcnt 0x0
	v_mul_f64_e32 v[8:9], v[6:7], v[15:16]
	s_delay_alu instid0(VALU_DEP_2) | instskip(SKIP_1) | instid1(VALU_DEP_3)
	v_fma_f64 v[10:11], v[4:5], v[15:16], v[2:3]
	v_fma_f64 v[2:3], v[4:5], v[15:16], -v[2:3]
	v_fma_f64 v[17:18], v[0:1], 0.5, v[8:9]
	v_fma_f64 v[0:1], v[0:1], 0.5, -v[8:9]
	s_delay_alu instid0(VALU_DEP_4) | instskip(NEXT) | instid1(VALU_DEP_4)
	v_fma_f64 v[10:11], -v[13:14], v[6:7], v[10:11]
	v_fma_f64 v[2:3], -v[13:14], v[6:7], v[2:3]
	s_delay_alu instid0(VALU_DEP_4) | instskip(NEXT) | instid1(VALU_DEP_4)
	v_fma_f64 v[8:9], v[4:5], v[13:14], v[17:18]
	v_fma_f64 v[0:1], -v[4:5], v[13:14], v[0:1]
                                        ; implicit-def: $vgpr4_vgpr5
.LBB0_19:
	s_wait_alu 0xfffe
	s_or_saveexec_b32 s0, s1
	v_sub_nc_u32_e32 v16, 0, v61
	v_sub_nc_u32_e32 v15, 0, v68
	;; [unrolled: 1-line block ×4, first 2 shown]
	s_wait_alu 0xfffe
	s_xor_b32 exec_lo, exec_lo, s0
	s_cbranch_execz .LBB0_21
; %bb.20:
	s_wait_dscnt 0x0
	v_add_f64_e32 v[8:9], v[4:5], v[6:7]
	v_add_f64_e64 v[0:1], v[4:5], -v[6:7]
	v_mov_b32_e32 v6, 0
	v_mov_b32_e32 v10, 0
	;; [unrolled: 1-line block ×3, first 2 shown]
	s_delay_alu instid0(VALU_DEP_2)
	v_mov_b32_e32 v2, v10
	ds_load_b64 v[4:5], v6 offset:6056
	v_mov_b32_e32 v3, v11
	s_wait_dscnt 0x0
	v_xor_b32_e32 v5, 0x80000000, v5
	ds_store_b64 v6, v[4:5] offset:6056
.LBB0_21:
	s_or_b32 exec_lo, exec_lo, s0
	v_mov_b32_e32 v61, 0
	v_add_nc_u32_e32 v25, v73, v16
	s_wait_dscnt 0x0
	s_delay_alu instid0(VALU_DEP_2) | instskip(SKIP_1) | instid1(VALU_DEP_1)
	v_lshlrev_b64_e32 v[4:5], 4, v[60:61]
	v_mov_b32_e32 v68, v61
	v_lshlrev_b64_e32 v[17:18], 4, v[67:68]
	v_mov_b32_e32 v67, v61
	s_delay_alu instid0(VALU_DEP_4) | instskip(SKIP_2) | instid1(VALU_DEP_4)
	v_add_co_u32 v4, s0, s8, v4
	s_wait_alu 0xf1ff
	v_add_co_ci_u32_e64 v5, s0, s9, v5, s0
	v_add_co_u32 v17, s0, s8, v17
	s_wait_alu 0xf1ff
	v_add_co_ci_u32_e64 v18, s0, s9, v18, s0
	s_clause 0x1
	global_load_b128 v[4:7], v[4:5], off offset:12064
	global_load_b128 v[17:20], v[17:18], off offset:12064
	ds_store_2addr_b64 v69, v[8:9], v[10:11] offset1:1
	ds_store_b128 v12, v[0:3] offset:12096
	ds_load_b128 v[0:3], v76
	ds_load_b128 v[8:11], v12 offset:11088
	s_wait_dscnt 0x0
	v_add_f64_e64 v[21:22], v[0:1], -v[8:9]
	v_add_f64_e32 v[23:24], v[2:3], v[10:11]
	v_add_f64_e64 v[2:3], v[2:3], -v[10:11]
	v_add_f64_e32 v[0:1], v[0:1], v[8:9]
	s_delay_alu instid0(VALU_DEP_4) | instskip(NEXT) | instid1(VALU_DEP_4)
	v_mul_f64_e32 v[10:11], 0.5, v[21:22]
	v_mul_f64_e32 v[21:22], 0.5, v[23:24]
	s_delay_alu instid0(VALU_DEP_4) | instskip(SKIP_1) | instid1(VALU_DEP_3)
	v_mul_f64_e32 v[2:3], 0.5, v[2:3]
	s_wait_loadcnt 0x1
	v_mul_f64_e32 v[8:9], v[10:11], v[6:7]
	s_delay_alu instid0(VALU_DEP_2) | instskip(SKIP_1) | instid1(VALU_DEP_3)
	v_fma_f64 v[23:24], v[21:22], v[6:7], v[2:3]
	v_fma_f64 v[2:3], v[21:22], v[6:7], -v[2:3]
	v_fma_f64 v[6:7], v[0:1], 0.5, v[8:9]
	v_fma_f64 v[0:1], v[0:1], 0.5, -v[8:9]
	s_delay_alu instid0(VALU_DEP_4) | instskip(NEXT) | instid1(VALU_DEP_4)
	v_fma_f64 v[8:9], -v[4:5], v[10:11], v[23:24]
	v_fma_f64 v[10:11], -v[4:5], v[10:11], v[2:3]
	s_delay_alu instid0(VALU_DEP_4) | instskip(NEXT) | instid1(VALU_DEP_4)
	v_fma_f64 v[6:7], v[21:22], v[4:5], v[6:7]
	v_fma_f64 v[4:5], -v[21:22], v[4:5], v[0:1]
	v_lshlrev_b64_e32 v[0:1], 4, v[66:67]
	v_mov_b32_e32 v66, v61
	s_delay_alu instid0(VALU_DEP_2) | instskip(SKIP_1) | instid1(VALU_DEP_3)
	v_add_co_u32 v0, s0, s8, v0
	s_wait_alu 0xf1ff
	v_add_co_ci_u32_e64 v1, s0, s9, v1, s0
	global_load_b128 v[0:3], v[0:1], off offset:12064
	ds_store_b64 v76, v[8:9] offset:8
	ds_store_b64 v12, v[10:11] offset:11096
	ds_store_b64 v76, v[6:7]
	ds_store_b64 v12, v[4:5] offset:11088
	ds_load_b128 v[4:7], v25
	ds_load_b128 v[8:11], v12 offset:10080
	s_wait_dscnt 0x0
	v_add_f64_e64 v[21:22], v[4:5], -v[8:9]
	v_add_f64_e32 v[23:24], v[6:7], v[10:11]
	v_add_f64_e64 v[6:7], v[6:7], -v[10:11]
	v_add_f64_e32 v[4:5], v[4:5], v[8:9]
	s_delay_alu instid0(VALU_DEP_4) | instskip(NEXT) | instid1(VALU_DEP_4)
	v_mul_f64_e32 v[10:11], 0.5, v[21:22]
	v_mul_f64_e32 v[21:22], 0.5, v[23:24]
	s_delay_alu instid0(VALU_DEP_4) | instskip(SKIP_1) | instid1(VALU_DEP_3)
	v_mul_f64_e32 v[6:7], 0.5, v[6:7]
	s_wait_loadcnt 0x1
	v_mul_f64_e32 v[8:9], v[10:11], v[19:20]
	s_delay_alu instid0(VALU_DEP_2) | instskip(SKIP_1) | instid1(VALU_DEP_3)
	v_fma_f64 v[23:24], v[21:22], v[19:20], v[6:7]
	v_fma_f64 v[6:7], v[21:22], v[19:20], -v[6:7]
	v_fma_f64 v[19:20], v[4:5], 0.5, v[8:9]
	v_fma_f64 v[4:5], v[4:5], 0.5, -v[8:9]
	s_delay_alu instid0(VALU_DEP_4)
	v_fma_f64 v[8:9], -v[17:18], v[10:11], v[23:24]
	v_add_nc_u32_e32 v23, v72, v15
	v_fma_f64 v[10:11], -v[17:18], v[10:11], v[6:7]
	v_fma_f64 v[19:20], v[21:22], v[17:18], v[19:20]
	v_fma_f64 v[16:17], -v[21:22], v[17:18], v[4:5]
	v_lshlrev_b64_e32 v[4:5], 4, v[65:66]
	s_delay_alu instid0(VALU_DEP_1) | instskip(SKIP_1) | instid1(VALU_DEP_2)
	v_add_co_u32 v4, s0, s8, v4
	s_wait_alu 0xf1ff
	v_add_co_ci_u32_e64 v5, s0, s9, v5, s0
	global_load_b128 v[4:7], v[4:5], off offset:12064
	ds_store_b64 v25, v[8:9] offset:8
	ds_store_b64 v12, v[10:11] offset:10088
	ds_store_b64 v25, v[19:20]
	ds_store_b64 v12, v[16:17] offset:10080
	ds_load_b128 v[8:11], v23
	ds_load_b128 v[15:18], v12 offset:9072
	s_wait_dscnt 0x0
	v_add_f64_e64 v[19:20], v[8:9], -v[15:16]
	v_add_f64_e32 v[21:22], v[10:11], v[17:18]
	v_add_f64_e64 v[10:11], v[10:11], -v[17:18]
	v_add_f64_e32 v[8:9], v[8:9], v[15:16]
	s_delay_alu instid0(VALU_DEP_4) | instskip(NEXT) | instid1(VALU_DEP_4)
	v_mul_f64_e32 v[17:18], 0.5, v[19:20]
	v_mul_f64_e32 v[19:20], 0.5, v[21:22]
	s_delay_alu instid0(VALU_DEP_4) | instskip(SKIP_1) | instid1(VALU_DEP_3)
	v_mul_f64_e32 v[10:11], 0.5, v[10:11]
	s_wait_loadcnt 0x1
	v_mul_f64_e32 v[15:16], v[17:18], v[2:3]
	s_delay_alu instid0(VALU_DEP_2) | instskip(SKIP_1) | instid1(VALU_DEP_3)
	v_fma_f64 v[21:22], v[19:20], v[2:3], v[10:11]
	v_fma_f64 v[2:3], v[19:20], v[2:3], -v[10:11]
	v_fma_f64 v[10:11], v[8:9], 0.5, v[15:16]
	v_fma_f64 v[8:9], v[8:9], 0.5, -v[15:16]
	s_delay_alu instid0(VALU_DEP_4) | instskip(NEXT) | instid1(VALU_DEP_4)
	v_fma_f64 v[15:16], -v[0:1], v[17:18], v[21:22]
	v_fma_f64 v[17:18], -v[0:1], v[17:18], v[2:3]
	v_dual_mov_b32 v65, v61 :: v_dual_add_nc_u32 v22, v70, v14
	v_fma_f64 v[10:11], v[19:20], v[0:1], v[10:11]
	v_fma_f64 v[8:9], -v[19:20], v[0:1], v[8:9]
	s_delay_alu instid0(VALU_DEP_3) | instskip(NEXT) | instid1(VALU_DEP_1)
	v_lshlrev_b64_e32 v[0:1], 4, v[64:65]
	v_add_co_u32 v0, s0, s8, v0
	s_wait_alu 0xf1ff
	s_delay_alu instid0(VALU_DEP_2)
	v_add_co_ci_u32_e64 v1, s0, s9, v1, s0
	global_load_b128 v[0:3], v[0:1], off offset:12064
	ds_store_b64 v23, v[15:16] offset:8
	ds_store_b64 v12, v[17:18] offset:9080
	ds_store_b64 v23, v[10:11]
	ds_store_b64 v12, v[8:9] offset:9072
	ds_load_b128 v[8:11], v22
	ds_load_b128 v[14:17], v12 offset:8064
	s_wait_dscnt 0x0
	v_add_f64_e64 v[18:19], v[8:9], -v[14:15]
	v_add_f64_e32 v[20:21], v[10:11], v[16:17]
	v_add_f64_e64 v[10:11], v[10:11], -v[16:17]
	v_add_f64_e32 v[8:9], v[8:9], v[14:15]
	s_delay_alu instid0(VALU_DEP_4) | instskip(NEXT) | instid1(VALU_DEP_4)
	v_mul_f64_e32 v[16:17], 0.5, v[18:19]
	v_mul_f64_e32 v[18:19], 0.5, v[20:21]
	s_delay_alu instid0(VALU_DEP_4) | instskip(SKIP_1) | instid1(VALU_DEP_3)
	v_mul_f64_e32 v[10:11], 0.5, v[10:11]
	s_wait_loadcnt 0x1
	v_mul_f64_e32 v[14:15], v[16:17], v[6:7]
	s_delay_alu instid0(VALU_DEP_2) | instskip(SKIP_1) | instid1(VALU_DEP_3)
	v_fma_f64 v[20:21], v[18:19], v[6:7], v[10:11]
	v_fma_f64 v[6:7], v[18:19], v[6:7], -v[10:11]
	v_fma_f64 v[10:11], v[8:9], 0.5, v[14:15]
	v_fma_f64 v[8:9], v[8:9], 0.5, -v[14:15]
	s_delay_alu instid0(VALU_DEP_4) | instskip(NEXT) | instid1(VALU_DEP_4)
	v_fma_f64 v[14:15], -v[4:5], v[16:17], v[20:21]
	v_fma_f64 v[6:7], -v[4:5], v[16:17], v[6:7]
	v_add_nc_u32_e32 v17, v71, v13
	v_fma_f64 v[10:11], v[18:19], v[4:5], v[10:11]
	v_fma_f64 v[4:5], -v[18:19], v[4:5], v[8:9]
	ds_store_b64 v22, v[14:15] offset:8
	ds_store_b64 v12, v[6:7] offset:8072
	ds_store_b64 v22, v[10:11]
	ds_store_b64 v12, v[4:5] offset:8064
	ds_load_b128 v[4:7], v17
	ds_load_b128 v[8:11], v12 offset:7056
	s_wait_dscnt 0x0
	v_add_f64_e64 v[13:14], v[4:5], -v[8:9]
	v_add_f64_e32 v[15:16], v[6:7], v[10:11]
	v_add_f64_e64 v[6:7], v[6:7], -v[10:11]
	v_add_f64_e32 v[4:5], v[4:5], v[8:9]
	s_delay_alu instid0(VALU_DEP_4) | instskip(NEXT) | instid1(VALU_DEP_4)
	v_mul_f64_e32 v[10:11], 0.5, v[13:14]
	v_mul_f64_e32 v[13:14], 0.5, v[15:16]
	s_delay_alu instid0(VALU_DEP_4) | instskip(SKIP_1) | instid1(VALU_DEP_3)
	v_mul_f64_e32 v[6:7], 0.5, v[6:7]
	s_wait_loadcnt 0x0
	v_mul_f64_e32 v[8:9], v[10:11], v[2:3]
	s_delay_alu instid0(VALU_DEP_2) | instskip(SKIP_1) | instid1(VALU_DEP_3)
	v_fma_f64 v[15:16], v[13:14], v[2:3], v[6:7]
	v_fma_f64 v[2:3], v[13:14], v[2:3], -v[6:7]
	v_fma_f64 v[6:7], v[4:5], 0.5, v[8:9]
	v_fma_f64 v[4:5], v[4:5], 0.5, -v[8:9]
	s_delay_alu instid0(VALU_DEP_4) | instskip(NEXT) | instid1(VALU_DEP_4)
	v_fma_f64 v[8:9], -v[0:1], v[10:11], v[15:16]
	v_fma_f64 v[2:3], -v[0:1], v[10:11], v[2:3]
	s_delay_alu instid0(VALU_DEP_4) | instskip(NEXT) | instid1(VALU_DEP_4)
	v_fma_f64 v[6:7], v[13:14], v[0:1], v[6:7]
	v_fma_f64 v[0:1], -v[13:14], v[0:1], v[4:5]
	ds_store_b64 v17, v[8:9] offset:8
	ds_store_b64 v12, v[2:3] offset:7064
	ds_store_b64 v17, v[6:7]
	ds_store_b64 v12, v[0:1] offset:7056
	global_wb scope:SCOPE_SE
	s_wait_dscnt 0x0
	s_barrier_signal -1
	s_barrier_wait -1
	global_inv scope:SCOPE_SE
	s_and_saveexec_b32 s0, vcc_lo
	s_cbranch_execz .LBB0_24
; %bb.22:
	v_mul_lo_u32 v2, s3, v62
	v_mul_lo_u32 v3, s2, v63
	v_mad_co_u64_u32 v[0:1], null, s2, v62, 0
	v_dual_mov_b32 v59, v61 :: v_dual_add_nc_u32 v60, 63, v58
	v_lshlrev_b64_e32 v[10:11], 4, v[56:57]
	v_lshl_add_u32 v28, v58, 4, 0
	s_delay_alu instid0(VALU_DEP_3)
	v_lshlrev_b64_e32 v[12:13], 4, v[58:59]
	v_add3_u32 v1, v1, v3, v2
	ds_load_b128 v[2:5], v28
	ds_load_b128 v[6:9], v28 offset:1008
	v_lshlrev_b64_e32 v[18:19], 4, v[60:61]
	v_add_nc_u32_e32 v60, 0x7e, v58
	v_lshlrev_b64_e32 v[0:1], 4, v[0:1]
	s_delay_alu instid0(VALU_DEP_2) | instskip(SKIP_1) | instid1(VALU_DEP_3)
	v_lshlrev_b64_e32 v[20:21], 4, v[60:61]
	v_add_nc_u32_e32 v60, 0xbd, v58
	v_add_co_u32 v0, vcc_lo, s6, v0
	s_wait_alu 0xfffd
	s_delay_alu instid0(VALU_DEP_4) | instskip(NEXT) | instid1(VALU_DEP_3)
	v_add_co_ci_u32_e32 v1, vcc_lo, s7, v1, vcc_lo
	v_lshlrev_b64_e32 v[24:25], 4, v[60:61]
	s_delay_alu instid0(VALU_DEP_3) | instskip(SKIP_1) | instid1(VALU_DEP_3)
	v_add_co_u32 v0, vcc_lo, v0, v10
	s_wait_alu 0xfffd
	v_add_co_ci_u32_e32 v1, vcc_lo, v1, v11, vcc_lo
	v_add_nc_u32_e32 v60, 0xfc, v58
	s_delay_alu instid0(VALU_DEP_3) | instskip(SKIP_1) | instid1(VALU_DEP_3)
	v_add_co_u32 v22, vcc_lo, v0, v12
	s_wait_alu 0xfffd
	v_add_co_ci_u32_e32 v23, vcc_lo, v1, v13, vcc_lo
	ds_load_b128 v[10:13], v28 offset:2016
	ds_load_b128 v[14:17], v28 offset:3024
	v_add_co_u32 v18, vcc_lo, v0, v18
	s_wait_alu 0xfffd
	v_add_co_ci_u32_e32 v19, vcc_lo, v1, v19, vcc_lo
	v_add_co_u32 v20, vcc_lo, v0, v20
	s_wait_alu 0xfffd
	v_add_co_ci_u32_e32 v21, vcc_lo, v1, v21, vcc_lo
	v_add_co_u32 v24, vcc_lo, v0, v24
	v_lshlrev_b64_e32 v[26:27], 4, v[60:61]
	v_add_nc_u32_e32 v60, 0x13b, v58
	s_wait_alu 0xfffd
	v_add_co_ci_u32_e32 v25, vcc_lo, v1, v25, vcc_lo
	s_wait_dscnt 0x3
	global_store_b128 v[22:23], v[2:5], off
	s_wait_dscnt 0x2
	global_store_b128 v[18:19], v[6:9], off
	;; [unrolled: 2-line block ×4, first 2 shown]
	v_lshlrev_b64_e32 v[18:19], 4, v[60:61]
	v_add_nc_u32_e32 v60, 0x17a, v58
	ds_load_b128 v[2:5], v28 offset:4032
	ds_load_b128 v[6:9], v28 offset:5040
	;; [unrolled: 1-line block ×4, first 2 shown]
	v_add_co_u32 v20, vcc_lo, v0, v26
	v_lshlrev_b64_e32 v[22:23], 4, v[60:61]
	v_add_nc_u32_e32 v60, 0x1b9, v58
	s_wait_alu 0xfffd
	v_add_co_ci_u32_e32 v21, vcc_lo, v1, v27, vcc_lo
	v_add_co_u32 v18, vcc_lo, v0, v18
	s_delay_alu instid0(VALU_DEP_3)
	v_lshlrev_b64_e32 v[24:25], 4, v[60:61]
	v_add_nc_u32_e32 v60, 0x1f8, v58
	s_wait_alu 0xfffd
	v_add_co_ci_u32_e32 v19, vcc_lo, v1, v19, vcc_lo
	v_add_co_u32 v22, vcc_lo, v0, v22
	s_wait_alu 0xfffd
	v_add_co_ci_u32_e32 v23, vcc_lo, v1, v23, vcc_lo
	v_lshlrev_b64_e32 v[26:27], 4, v[60:61]
	v_add_nc_u32_e32 v60, 0x237, v58
	v_add_co_u32 v24, vcc_lo, v0, v24
	s_wait_alu 0xfffd
	v_add_co_ci_u32_e32 v25, vcc_lo, v1, v25, vcc_lo
	s_wait_dscnt 0x3
	global_store_b128 v[20:21], v[2:5], off
	s_wait_dscnt 0x2
	global_store_b128 v[18:19], v[6:9], off
	;; [unrolled: 2-line block ×4, first 2 shown]
	v_lshlrev_b64_e32 v[20:21], 4, v[60:61]
	v_add_nc_u32_e32 v60, 0x276, v58
	ds_load_b128 v[2:5], v28 offset:8064
	ds_load_b128 v[6:9], v28 offset:9072
	;; [unrolled: 1-line block ×4, first 2 shown]
	v_add_co_u32 v18, vcc_lo, v0, v26
	s_wait_alu 0xfffd
	v_add_co_ci_u32_e32 v19, vcc_lo, v1, v27, vcc_lo
	v_lshlrev_b64_e32 v[22:23], 4, v[60:61]
	v_add_nc_u32_e32 v60, 0x2b5, v58
	v_add_co_u32 v20, vcc_lo, v0, v20
	s_wait_alu 0xfffd
	v_add_co_ci_u32_e32 v21, vcc_lo, v1, v21, vcc_lo
	s_delay_alu instid0(VALU_DEP_3) | instskip(SKIP_3) | instid1(VALU_DEP_3)
	v_lshlrev_b64_e32 v[24:25], 4, v[60:61]
	v_add_co_u32 v22, vcc_lo, v0, v22
	s_wait_alu 0xfffd
	v_add_co_ci_u32_e32 v23, vcc_lo, v1, v23, vcc_lo
	v_add_co_u32 v24, vcc_lo, v0, v24
	s_wait_alu 0xfffd
	v_add_co_ci_u32_e32 v25, vcc_lo, v1, v25, vcc_lo
	v_cmp_eq_u32_e32 vcc_lo, 62, v58
	s_wait_dscnt 0x3
	global_store_b128 v[18:19], v[2:5], off
	s_wait_dscnt 0x2
	global_store_b128 v[20:21], v[6:9], off
	;; [unrolled: 2-line block ×4, first 2 shown]
	s_and_b32 exec_lo, exec_lo, vcc_lo
	s_cbranch_execz .LBB0_24
; %bb.23:
	v_mov_b32_e32 v2, 0
	ds_load_b128 v[2:5], v2 offset:12096
	s_wait_dscnt 0x0
	global_store_b128 v[0:1], v[2:5], off offset:12096
.LBB0_24:
	s_nop 0
	s_sendmsg sendmsg(MSG_DEALLOC_VGPRS)
	s_endpgm
	.section	.rodata,"a",@progbits
	.p2align	6, 0x0
	.amdhsa_kernel fft_rtc_back_len756_factors_2_2_3_3_3_7_wgs_63_tpt_63_dp_op_CI_CI_unitstride_sbrr_R2C_dirReg
		.amdhsa_group_segment_fixed_size 0
		.amdhsa_private_segment_fixed_size 0
		.amdhsa_kernarg_size 104
		.amdhsa_user_sgpr_count 2
		.amdhsa_user_sgpr_dispatch_ptr 0
		.amdhsa_user_sgpr_queue_ptr 0
		.amdhsa_user_sgpr_kernarg_segment_ptr 1
		.amdhsa_user_sgpr_dispatch_id 0
		.amdhsa_user_sgpr_private_segment_size 0
		.amdhsa_wavefront_size32 1
		.amdhsa_uses_dynamic_stack 0
		.amdhsa_enable_private_segment 0
		.amdhsa_system_sgpr_workgroup_id_x 1
		.amdhsa_system_sgpr_workgroup_id_y 0
		.amdhsa_system_sgpr_workgroup_id_z 0
		.amdhsa_system_sgpr_workgroup_info 0
		.amdhsa_system_vgpr_workitem_id 0
		.amdhsa_next_free_vgpr 126
		.amdhsa_next_free_sgpr 39
		.amdhsa_reserve_vcc 1
		.amdhsa_float_round_mode_32 0
		.amdhsa_float_round_mode_16_64 0
		.amdhsa_float_denorm_mode_32 3
		.amdhsa_float_denorm_mode_16_64 3
		.amdhsa_fp16_overflow 0
		.amdhsa_workgroup_processor_mode 1
		.amdhsa_memory_ordered 1
		.amdhsa_forward_progress 0
		.amdhsa_round_robin_scheduling 0
		.amdhsa_exception_fp_ieee_invalid_op 0
		.amdhsa_exception_fp_denorm_src 0
		.amdhsa_exception_fp_ieee_div_zero 0
		.amdhsa_exception_fp_ieee_overflow 0
		.amdhsa_exception_fp_ieee_underflow 0
		.amdhsa_exception_fp_ieee_inexact 0
		.amdhsa_exception_int_div_zero 0
	.end_amdhsa_kernel
	.text
.Lfunc_end0:
	.size	fft_rtc_back_len756_factors_2_2_3_3_3_7_wgs_63_tpt_63_dp_op_CI_CI_unitstride_sbrr_R2C_dirReg, .Lfunc_end0-fft_rtc_back_len756_factors_2_2_3_3_3_7_wgs_63_tpt_63_dp_op_CI_CI_unitstride_sbrr_R2C_dirReg
                                        ; -- End function
	.section	.AMDGPU.csdata,"",@progbits
; Kernel info:
; codeLenInByte = 11356
; NumSgprs: 41
; NumVgprs: 126
; ScratchSize: 0
; MemoryBound: 0
; FloatMode: 240
; IeeeMode: 1
; LDSByteSize: 0 bytes/workgroup (compile time only)
; SGPRBlocks: 5
; VGPRBlocks: 15
; NumSGPRsForWavesPerEU: 41
; NumVGPRsForWavesPerEU: 126
; Occupancy: 10
; WaveLimiterHint : 1
; COMPUTE_PGM_RSRC2:SCRATCH_EN: 0
; COMPUTE_PGM_RSRC2:USER_SGPR: 2
; COMPUTE_PGM_RSRC2:TRAP_HANDLER: 0
; COMPUTE_PGM_RSRC2:TGID_X_EN: 1
; COMPUTE_PGM_RSRC2:TGID_Y_EN: 0
; COMPUTE_PGM_RSRC2:TGID_Z_EN: 0
; COMPUTE_PGM_RSRC2:TIDIG_COMP_CNT: 0
	.text
	.p2alignl 7, 3214868480
	.fill 96, 4, 3214868480
	.type	__hip_cuid_cc62fbd736a9f30b,@object ; @__hip_cuid_cc62fbd736a9f30b
	.section	.bss,"aw",@nobits
	.globl	__hip_cuid_cc62fbd736a9f30b
__hip_cuid_cc62fbd736a9f30b:
	.byte	0                               ; 0x0
	.size	__hip_cuid_cc62fbd736a9f30b, 1

	.ident	"AMD clang version 19.0.0git (https://github.com/RadeonOpenCompute/llvm-project roc-6.4.0 25133 c7fe45cf4b819c5991fe208aaa96edf142730f1d)"
	.section	".note.GNU-stack","",@progbits
	.addrsig
	.addrsig_sym __hip_cuid_cc62fbd736a9f30b
	.amdgpu_metadata
---
amdhsa.kernels:
  - .args:
      - .actual_access:  read_only
        .address_space:  global
        .offset:         0
        .size:           8
        .value_kind:     global_buffer
      - .offset:         8
        .size:           8
        .value_kind:     by_value
      - .actual_access:  read_only
        .address_space:  global
        .offset:         16
        .size:           8
        .value_kind:     global_buffer
      - .actual_access:  read_only
        .address_space:  global
        .offset:         24
        .size:           8
        .value_kind:     global_buffer
      - .actual_access:  read_only
        .address_space:  global
        .offset:         32
        .size:           8
        .value_kind:     global_buffer
      - .offset:         40
        .size:           8
        .value_kind:     by_value
      - .actual_access:  read_only
        .address_space:  global
        .offset:         48
        .size:           8
        .value_kind:     global_buffer
      - .actual_access:  read_only
        .address_space:  global
        .offset:         56
        .size:           8
        .value_kind:     global_buffer
      - .offset:         64
        .size:           4
        .value_kind:     by_value
      - .actual_access:  read_only
        .address_space:  global
        .offset:         72
        .size:           8
        .value_kind:     global_buffer
      - .actual_access:  read_only
        .address_space:  global
        .offset:         80
        .size:           8
        .value_kind:     global_buffer
      - .actual_access:  read_only
        .address_space:  global
        .offset:         88
        .size:           8
        .value_kind:     global_buffer
      - .actual_access:  write_only
        .address_space:  global
        .offset:         96
        .size:           8
        .value_kind:     global_buffer
    .group_segment_fixed_size: 0
    .kernarg_segment_align: 8
    .kernarg_segment_size: 104
    .language:       OpenCL C
    .language_version:
      - 2
      - 0
    .max_flat_workgroup_size: 63
    .name:           fft_rtc_back_len756_factors_2_2_3_3_3_7_wgs_63_tpt_63_dp_op_CI_CI_unitstride_sbrr_R2C_dirReg
    .private_segment_fixed_size: 0
    .sgpr_count:     41
    .sgpr_spill_count: 0
    .symbol:         fft_rtc_back_len756_factors_2_2_3_3_3_7_wgs_63_tpt_63_dp_op_CI_CI_unitstride_sbrr_R2C_dirReg.kd
    .uniform_work_group_size: 1
    .uses_dynamic_stack: false
    .vgpr_count:     126
    .vgpr_spill_count: 0
    .wavefront_size: 32
    .workgroup_processor_mode: 1
amdhsa.target:   amdgcn-amd-amdhsa--gfx1201
amdhsa.version:
  - 1
  - 2
...

	.end_amdgpu_metadata
